;; amdgpu-corpus repo=ROCm/aiter kind=harvested arch=n/a opt=n/a

/root/src/amdgpu-assembly/repos/ROCm__aiter/hsa/gfx942/fmha_v3_bwd/bwd_hd128_bf16_causal_a32_rtna_psskddv.co:	file format elf64-amdgpu

Disassembly of section .text:

0000000000003e00 <_ZN5aiter43fmha_bwd_hd128_bf16_causal_a32_rtna_psskddvE>:
	s_and_b32 s1, s1, 0xffff                                   // 000000003E00: 8601FF01 0000FFFF
	s_load_dwordx2 s[32:33], s[0:1], 0x0                       // 000000003E08: C0060800 00000000
	s_load_dwordx2 s[36:37], s[0:1], 0x10                      // 000000003E10: C0060900 00000010
	s_load_dwordx2 s[40:41], s[0:1], 0x20                      // 000000003E18: C0060A00 00000020
	s_load_dwordx2 s[8:9], s[0:1], 0x30                        // 000000003E20: C0060200 00000030
	s_load_dwordx2 s[12:13], s[0:1], 0x40                      // 000000003E28: C0060300 00000040
	s_load_dwordx2 s[16:17], s[0:1], 0x50                      // 000000003E30: C0060400 00000050
	s_load_dwordx2 s[20:21], s[0:1], 0x60                      // 000000003E38: C0060500 00000060
	s_load_dwordx2 s[24:25], s[0:1], 0x70                      // 000000003E40: C0060600 00000070
	s_load_dwordx2 s[28:29], s[0:1], 0x80                      // 000000003E48: C0060700 00000080
	s_load_dword s47, s[0:1], 0x90                             // 000000003E50: C0020BC0 00000090
	s_load_dword s48, s[0:1], 0xa0                             // 000000003E58: C0020C00 000000A0
	s_load_dword s49, s[0:1], 0xb0                             // 000000003E60: C0020C40 000000B0
	s_load_dword s78, s[0:1], 0xd0                             // 000000003E68: C0021380 000000D0
	s_load_dword s79, s[0:1], 0xe0                             // 000000003E70: C00213C0 000000E0
	s_load_dword s5, s[0:1], 0xf0                              // 000000003E78: C0020140 000000F0
	s_load_dword s44, s[0:1], 0x100                            // 000000003E80: C0020B00 00000100
	s_load_dword s80, s[0:1], 0x110                            // 000000003E88: C0021400 00000110
	s_load_dword s81, s[0:1], 0x120                            // 000000003E90: C0021440 00000120
	s_load_dword s6, s[0:1], 0x130                             // 000000003E98: C0020180 00000130
	s_load_dword s52, s[0:1], 0x140                            // 000000003EA0: C0020D00 00000140
	s_load_dword s50, s[0:1], 0x150                            // 000000003EA8: C0020C80 00000150
	s_load_dword s98, s[0:1], 0x160                            // 000000003EB0: C0021880 00000160
	s_load_dword s72, s[0:1], 0x180                            // 000000003EB8: C0021200 00000180
	s_load_dword s90, s[0:1], 0x190                            // 000000003EC0: C0021680 00000190
	s_load_dword s91, s[0:1], 0x1a0                            // 000000003EC8: C00216C0 000001A0
	s_load_dword s7, s[0:1], 0x1b0                             // 000000003ED0: C00201C0 000001B0
	s_load_dword s92, s[0:1], 0x1c0                            // 000000003ED8: C0021700 000001C0
	s_load_dword s93, s[0:1], 0x1d0                            // 000000003EE0: C0021740 000001D0
	s_load_dword s51, s[0:1], 0x1e0                            // 000000003EE8: C0020CC0 000001E0
	s_load_dword s94, s[0:1], 0x1f0                            // 000000003EF0: C0021780 000001F0
	s_load_dword s95, s[0:1], 0x200                            // 000000003EF8: C00217C0 00000200
	s_load_dword s96, s[0:1], 0x210                            // 000000003F00: C0021800 00000210
	s_load_dword s97, s[0:1], 0x220                            // 000000003F08: C0021840 00000220
	s_load_dword s53, s[0:1], 0x230                            // 000000003F10: C0020D40 00000230
	v_lshrrev_b32_e32 v1, 10, v0                               // 000000003F18: 2002008A
	v_lshrrev_b32_e32 v2, 10, v1                               // 000000003F1C: 2004028A
	v_and_b32_e32 v2, 0x3ff, v2                                // 000000003F20: 260404FF 000003FF
	v_and_b32_e32 v1, 0x3ff, v1                                // 000000003F28: 260202FF 000003FF
	v_and_b32_e32 v0, 0x3ff, v0                                // 000000003F30: 260000FF 000003FF
	v_lshrrev_b32_e32 v3, 6, v0                                // 000000003F38: 20060086
	v_and_b32_e32 v0, 63, v0                                   // 000000003F3C: 260000BF
	s_mov_b32 s2, s2                                           // 000000003F40: BE820002
	s_mov_b32 s3, s3                                           // 000000003F44: BE830003
	s_mov_b32 s4, s4                                           // 000000003F48: BE840004
	v_readfirstlane_b32 s46, v3                                // 000000003F4C: 7E5C0503
	s_waitcnt lgkmcnt(0)                                       // 000000003F50: BF8CC07F
	s_mov_b32 s11, 0x20000                                     // 000000003F54: BE8B00FF 00020000
	s_mov_b32 s15, 0x20000                                     // 000000003F5C: BE8F00FF 00020000
	s_mov_b32 s19, 0x20000                                     // 000000003F64: BE9300FF 00020000
	s_mov_b32 s23, 0x20000                                     // 000000003F6C: BE9700FF 00020000
	s_mov_b32 s27, 0x20000                                     // 000000003F74: BE9B00FF 00020000
	s_mov_b32 s31, 0x20000                                     // 000000003F7C: BE9F00FF 00020000
	s_mov_b32 s35, 0x20000                                     // 000000003F84: BEA300FF 00020000
	s_mov_b32 s39, 0x20000                                     // 000000003F8C: BEA700FF 00020000
	s_mov_b32 s43, 0x20000                                     // 000000003F94: BEAB00FF 00020000
	s_and_b32 s9, s9, 0xffff                                   // 000000003F9C: 8609FF09 0000FFFF
	s_and_b32 s13, s13, 0xffff                                 // 000000003FA4: 860DFF0D 0000FFFF
	s_and_b32 s17, s17, 0xffff                                 // 000000003FAC: 8611FF11 0000FFFF
	s_and_b32 s21, s21, 0xffff                                 // 000000003FB4: 8615FF15 0000FFFF
	s_and_b32 s25, s25, 0xffff                                 // 000000003FBC: 8619FF19 0000FFFF
	s_and_b32 s29, s29, 0xffff                                 // 000000003FC4: 861DFF1D 0000FFFF
	s_and_b32 s33, s33, 0xffff                                 // 000000003FCC: 8621FF21 0000FFFF
	s_and_b32 s37, s37, 0xffff                                 // 000000003FD4: 8625FF25 0000FFFF
	s_and_b32 s41, s41, 0xffff                                 // 000000003FDC: 8629FF29 0000FFFF
	s_or_b32 s9, s9, 0x40000                                   // 000000003FE4: 8709FF09 00040000
	s_or_b32 s13, s13, 0x40000                                 // 000000003FEC: 870DFF0D 00040000
	s_or_b32 s17, s17, 0x40000                                 // 000000003FF4: 8711FF11 00040000
	s_or_b32 s21, s21, 0x40000                                 // 000000003FFC: 8715FF15 00040000
	s_or_b32 s25, s25, 0x40000                                 // 000000004004: 8719FF19 00040000
	s_or_b32 s29, s29, 0x40000                                 // 00000000400C: 871DFF1D 00040000
	s_or_b32 s33, s33, 0x40000                                 // 000000004014: 8721FF21 00040000
	s_or_b32 s37, s37, 0x40000                                 // 00000000401C: 8725FF25 00040000
	s_or_b32 s41, s41, 0x40000                                 // 000000004024: 8729FF29 00040000
	v_accvgpr_write_b32 a255, 0                                // 00000000402C: D3D940FF 18000080
	v_mov_b32_e32 v255, 0                                      // 000000004034: 7FFE0280
	s_mov_b32 s71, s3                                          // 000000004038: BEC70003
	v_cvt_f32_u32_e32 v28, s44                                 // 00000000403C: 7E380C2C
	s_sub_i32 s60, 0, s44                                      // 000000004040: 81BC2C80
	v_rcp_iflag_f32_e32 v28, v28                               // 000000004044: 7E38471C
	s_nop 0                                                    // 000000004048: BF800000
	v_mul_f32_e32 v28, 0x4f7ffffe, v28                         // 00000000404C: 0A3838FF 4F7FFFFE
	v_cvt_u32_f32_e32 v28, v28                                 // 000000004054: 7E380F1C
	v_mul_lo_u32 v29, s60, v28                                 // 000000004058: D285001D 0002383C
	v_mul_hi_u32 v29, v28, v29                                 // 000000004060: D286001D 00023B1C
	v_add_u32_e32 v28, v28, v29                                // 000000004068: 68383B1C
	v_mul_hi_u32 v28, s71, v28                                 // 00000000406C: D286001C 00023847
	v_mul_lo_u32 v29, v28, s44                                 // 000000004074: D285001D 0000591C
	v_sub_u32_e32 v31, s71, v29                                // 00000000407C: 6A3E3A47
	v_add_u32_e32 v30, 1, v28                                  // 000000004080: 683C3881
	v_cmp_le_u32_e32 vcc, s44, v31                             // 000000004084: 7D963E2C
	v_subrev_u32_e32 v29, s44, v31                             // 000000004088: 6C3A3E2C
	s_nop 0                                                    // 00000000408C: BF800000
	v_cndmask_b32_e32 v28, v28, v30, vcc                       // 000000004090: 00383D1C
	v_cndmask_b32_e32 v31, v31, v29, vcc                       // 000000004094: 003E3B1F
	v_add_u32_e32 v29, 1, v28                                  // 000000004098: 683A3881
	v_cmp_le_u32_e32 vcc, s44, v31                             // 00000000409C: 7D963E2C
	s_nop 1                                                    // 0000000040A0: BF800001
	v_cndmask_b32_e32 v31, v28, v29, vcc                       // 0000000040A4: 003E3B1C
	s_nop 3                                                    // 0000000040A8: BF800003
	v_readfirstlane_b32 s45, v31                               // 0000000040AC: 7E5A051F
	s_nop 3                                                    // 0000000040B0: BF800003
	s_mul_i32 s61, s45, s80                                    // 0000000040B4: 923D502D
	s_mov_b32 s54, s61                                         // 0000000040B8: BEB6003D
	s_add_u32 s12, s54, s12                                    // 0000000040BC: 800C0C36
	s_addc_u32 s13, 0, s13                                     // 0000000040C0: 820D0D80
	s_mul_i32 s60, s4, s81                                     // 0000000040C4: 923C5104
	s_mul_hi_u32 s61, s4, s81                                  // 0000000040C8: 963D5104
	s_and_b32 s61, s61, 0xffff                                 // 0000000040CC: 863DFF3D 0000FFFF
	s_add_u32 s12, s12, s60                                    // 0000000040D4: 800C3C0C
	s_addc_u32 s13, s13, s61                                   // 0000000040D8: 820D3D0D
	s_mul_i32 s61, s45, s90                                    // 0000000040DC: 923D5A2D
	s_mov_b32 s54, s61                                         // 0000000040E0: BEB6003D
	s_add_u32 s16, s54, s16                                    // 0000000040E4: 80101036
	s_addc_u32 s17, 0, s17                                     // 0000000040E8: 82111180
	s_mul_i32 s60, s4, s91                                     // 0000000040EC: 923C5B04
	s_mul_hi_u32 s61, s4, s91                                  // 0000000040F0: 963D5B04
	s_and_b32 s61, s61, 0xffff                                 // 0000000040F4: 863DFF3D 0000FFFF
	s_add_u32 s16, s16, s60                                    // 0000000040FC: 80103C10
	s_addc_u32 s17, s17, s61                                   // 000000004100: 82113D11
	s_mul_i32 s61, s3, s78                                     // 000000004104: 923D4E03
	s_mov_b32 s55, s61                                         // 000000004108: BEB7003D
	s_add_u32 s8, s55, s8                                      // 00000000410C: 80080837
	s_addc_u32 s9, 0, s9                                       // 000000004110: 82090980
	s_mul_i32 s60, s4, s79                                     // 000000004114: 923C4F04
	s_mul_hi_u32 s61, s4, s79                                  // 000000004118: 963D4F04
	s_and_b32 s61, s61, 0xffff                                 // 00000000411C: 863DFF3D 0000FFFF
	s_add_u32 s8, s8, s60                                      // 000000004124: 80083C08
	s_addc_u32 s9, s9, s61                                     // 000000004128: 82093D09
	s_mul_i32 s61, s3, s92                                     // 00000000412C: 923D5C03
	s_mov_b32 s56, s61                                         // 000000004130: BEB8003D
	s_add_u32 s20, s56, s20                                    // 000000004134: 80141438
	s_addc_u32 s21, 0, s21                                     // 000000004138: 82151580
	s_mul_i32 s60, s4, s93                                     // 00000000413C: 923C5D04
	s_mul_hi_u32 s61, s4, s93                                  // 000000004140: 963D5D04
	s_and_b32 s61, s61, 0xffff                                 // 000000004144: 863DFF3D 0000FFFF
	s_add_u32 s20, s20, s60                                    // 00000000414C: 80143C14
	s_addc_u32 s21, s21, s61                                   // 000000004150: 82153D15
	s_mul_i32 s62, s4, s72                                     // 000000004154: 923E4804
	s_mul_i32 s62, s62, s49                                    // 000000004158: 923E313E
	s_lshl_b32 s62, s62, 2                                     // 00000000415C: 8E3E823E
	s_mul_i32 s61, s3, s49                                     // 000000004160: 923D3103
	s_mul_i32 s61, 4, s61                                      // 000000004164: 923D3D84
	s_add_u32 s65, s61, s62                                    // 000000004168: 80413E3D
	s_mov_b32 s26, s49                                         // 00000000416C: BE9A0031
	s_mov_b32 s30, s49                                         // 000000004170: BE9E0031
	s_add_u32 s24, s65, s24                                    // 000000004174: 80181841
	s_addc_u32 s25, 0, s25                                     // 000000004178: 82191980
	s_add_u32 s28, s65, s28                                    // 00000000417C: 801C1C41
	s_addc_u32 s29, 0, s29                                     // 000000004180: 821D1D80
	s_mul_i32 s61, s3, s94                                     // 000000004184: 923D5E03
	s_mul_i32 s62, s4, s95                                     // 000000004188: 923E5F04
	s_add_u32 s60, s61, s62                                    // 00000000418C: 803C3E3D
	s_mul_hi_u32 s61, s4, s95                                  // 000000004190: 963D5F04
	s_and_b32 s61, s61, 0xffff                                 // 000000004194: 863DFF3D 0000FFFF
	s_add_u32 s36, s60, s36                                    // 00000000419C: 8024243C
	s_addc_u32 s37, s61, s37                                   // 0000000041A0: 8225253D
	s_mul_i32 s60, s50, s52                                    // 0000000041A4: 923C3432
	s_lshr_b32 s60, s60, 2                                     // 0000000041A8: 8F3C823C
	s_mov_b32 s38, s60                                         // 0000000041AC: BEA6003C
	s_mul_i32 s61, s3, s96                                     // 0000000041B0: 923D6003
	s_mul_i32 s62, s4, s97                                     // 0000000041B4: 923E6104
	s_add_u32 s60, s61, s62                                    // 0000000041B8: 803C3E3D
	s_mul_hi_u32 s61, s4, s97                                  // 0000000041BC: 963D6104
	s_and_b32 s61, s61, 0xffff                                 // 0000000041C0: 863DFF3D 0000FFFF
	s_add_u32 s40, s60, s40                                    // 0000000041C8: 8028283C
	s_addc_u32 s41, s61, s41                                   // 0000000041CC: 8229293D
	s_mul_i32 s60, s50, s53                                    // 0000000041D0: 923C3532
	s_lshr_b32 s60, s60, 2                                     // 0000000041D4: 8F3C823C
	s_mov_b32 s42, s60                                         // 0000000041D8: BEAA003C
	s_mul_i32 s60, s98, s65                                    // 0000000041DC: 923C4162
	s_mul_hi_u32 s62, s98, s65                                 // 0000000041E0: 963E4162
	s_and_b32 s62, s62, 0xffff                                 // 0000000041E4: 863EFF3E 0000FFFF
	s_add_u32 s32, s60, s32                                    // 0000000041EC: 8020203C
	s_addc_u32 s33, s62, s33                                   // 0000000041F0: 8221213E
	s_mul_i32 s60, s98, s49                                    // 0000000041F4: 923C3162
	s_lshl_b32 s60, s60, 2                                     // 0000000041F8: 8E3C823C
	s_mov_b32 s34, s60                                         // 0000000041FC: BEA2003C
	s_mov_b32 s82, s8                                          // 000000004200: BED20008
	s_mov_b32 s84, s12                                         // 000000004204: BED4000C
	s_mov_b32 s86, s16                                         // 000000004208: BED60010
	s_mov_b32 s88, s20                                         // 00000000420C: BED80014
	s_mov_b32 s83, s9                                          // 000000004210: BED30009
	s_mov_b32 s85, s13                                         // 000000004214: BED5000D
	s_mov_b32 s87, s17                                         // 000000004218: BED70011
	s_mov_b32 s89, s21                                         // 00000000421C: BED90015
	s_add_u32 s71, 0xbf, s50                                   // 000000004220: 804732FF 000000BF
	s_mov_b32 s74, 0xc0                                        // 000000004228: BECA00FF 000000C0
	v_cvt_f32_u32_e32 v28, s74                                 // 000000004230: 7E380C4A
	s_sub_i32 s60, 0, s74                                      // 000000004234: 81BC4A80
	v_rcp_iflag_f32_e32 v28, v28                               // 000000004238: 7E38471C
	s_nop 0                                                    // 00000000423C: BF800000
	v_mul_f32_e32 v28, 0x4f7ffffe, v28                         // 000000004240: 0A3838FF 4F7FFFFE
	v_cvt_u32_f32_e32 v28, v28                                 // 000000004248: 7E380F1C
	v_mul_lo_u32 v29, s60, v28                                 // 00000000424C: D285001D 0002383C
	v_mul_hi_u32 v29, v28, v29                                 // 000000004254: D286001D 00023B1C
	v_add_u32_e32 v28, v28, v29                                // 00000000425C: 68383B1C
	v_mul_hi_u32 v28, s71, v28                                 // 000000004260: D286001C 00023847
	v_mul_lo_u32 v29, v28, s74                                 // 000000004268: D285001D 0000951C
	v_sub_u32_e32 v31, s71, v29                                // 000000004270: 6A3E3A47
	v_add_u32_e32 v30, 1, v28                                  // 000000004274: 683C3881
	v_cmp_le_u32_e32 vcc, s74, v31                             // 000000004278: 7D963E4A
	v_subrev_u32_e32 v29, s74, v31                             // 00000000427C: 6C3A3E4A
	s_nop 0                                                    // 000000004280: BF800000
	v_cndmask_b32_e32 v28, v28, v30, vcc                       // 000000004284: 00383D1C
	v_cndmask_b32_e32 v31, v31, v29, vcc                       // 000000004288: 003E3B1F
	v_add_u32_e32 v29, 1, v28                                  // 00000000428C: 683A3881
	v_cmp_le_u32_e32 vcc, s74, v31                             // 000000004290: 7D963E4A
	s_nop 1                                                    // 000000004294: BF800001
	v_cndmask_b32_e32 v31, v28, v29, vcc                       // 000000004298: 003E3B1C
	s_nop 3                                                    // 00000000429C: BF800003
	v_readfirstlane_b32 s77, v31                               // 0000000042A0: 7E9A051F
	s_nop 3                                                    // 0000000042A4: BF800003
	v_mov_b32_e32 v28, s47                                     // 0000000042A8: 7E38022F
	v_mul_f32_e32 v28, s48, v28                                // 0000000042AC: 0A383830
	s_mov_b32 s58, s49                                         // 0000000042B0: BEBA0031
	s_mov_b32 s59, 0                                           // 0000000042B4: BEBB0080
	s_mov_b32 s63, 0x5040100                                   // 0000000042B8: BEBF00FF 05040100
	s_mov_b32 s64, 0x7060302                                   // 0000000042C0: BEC000FF 07060302
	v_readfirstlane_b32 s57, v28                               // 0000000042C8: 7E72051C
	v_mov_b32_e32 v30, 0x3020706                               // 0000000042CC: 7E3C02FF 03020706
	v_mov_b32_e32 v28, s63                                     // 0000000042D4: 7E38023F
	v_and_b32_e32 v29, 1, v0                                   // 0000000042D8: 263A0081
	v_cmp_eq_u32_e32 vcc, 1, v29                               // 0000000042DC: 7D943A81
	s_mul_i32 s60, s98, 64                                     // 0000000042E0: 923CC062
	s_mov_b32 s67, s60                                         // 0000000042E4: BEC3003C
	v_cndmask_b32_e32 v15, v28, v30, vcc                       // 0000000042E8: 001E3D1C
	v_mov_b32_e32 v249, 0xffff0000                             // 0000000042EC: 7FF202FF FFFF0000
	v_mov_b32_e32 v250, 0x7fff0000                             // 0000000042F4: 7FF402FF 7FFF0000
	v_mov_b32_e32 v251, 0x7fff                                 // 0000000042FC: 7FF602FF 00007FFF
	s_cmp_lt_u32 s46, 2                                        // 000000004304: BF0A822E
	s_cselect_b32 s24, s24, s28                                // 000000004308: 85181C18
	s_cselect_b32 s25, s25, s29                                // 00000000430C: 85191D19
	s_cselect_b32 s26, s26, s30                                // 000000004310: 851A1E1A
	s_cselect_b32 s27, s27, s31                                // 000000004314: 851B1F1B
	s_lshr_b32 s60, s46, 1                                     // 000000004318: 8F3C812E
	s_lshl_b32 s60, s60, 8                                     // 00000000431C: 8E3C883C
	s_add_u32 s80, 0xc600, s60                                 // 000000004320: 80503CFF 0000C600
	s_add_u32 s81, 0x200, s80                                  // 000000004328: 805150FF 00000200
	s_mov_b32 s75, 0                                           // 000000004330: BECB0080
	s_mov_b32 s76, 1                                           // 000000004334: BECC0081
	s_lshl_b32 s60, s2, 1                                      // 000000004338: 8E3C8102
	s_add_u32 s60, 1, s60                                      // 00000000433C: 803C3C81
	s_cmp_ge_i32 s60, s77                                      // 000000004340: BF034D3C
	s_cselect_b32 s76, s76, 2                                  // 000000004344: 854C824C
	v_lshrrev_b32_e32 v28, 2, v0                               // 000000004348: 20380082
	v_and_b32_e32 v29, 3, v28                                  // 00000000434C: 263A3883
	v_lshrrev_b32_e32 v30, 3, v28                              // 000000004350: 203C3883
	v_lshlrev_b32_e32 v30, 2, v30                              // 000000004354: 243C3C82
	v_add_u32_e32 v28, v30, v29                                // 000000004358: 68383B1E
	s_lshr_b32 s60, s46, 1                                     // 00000000435C: 8F3C812E
	s_sub_i32 s60, 1, s60                                      // 000000004360: 81BC3C81
	v_mul_i32_i24_e64 v29, s60, 8                              // 000000004364: D106001D 0001103C
	v_mov_b32_e32 v30, s98                                     // 00000000436C: 7E3C0262
	v_sub_u32_e64 v30, v30, 64                                 // 000000004370: D135001E 0001811E
	v_lshrrev_b32_e32 v30, 3, v30                              // 000000004378: 203C3C83
	v_add_u32_e32 v29, v30, v29                                // 00000000437C: 683A3B1E
	v_cmp_lt_u32_e64 s[90:91], v28, v29                        // 000000004380: D0C9005A 00023B1C

0000000000004388 <label_0162>:
	s_mov_b32 m0, s80                                          // 000000004388: BEFC0050
	s_mov_b32 s66, 0                                           // 00000000438C: BEC20080
	v_mov_b32_e32 v151, 0xff800000                             // 000000004390: 7F2E02FF FF800000
	s_mov_b32 s74, 0                                           // 000000004398: BECA0080
	s_mul_i32 s68, 4, s5                                       // 00000000439C: 92440584
	s_mul_i32 s99, 4, s51                                      // 0000000043A0: 92633384
	s_mov_b32 s69, 16                                          // 0000000043A4: BEC50090
	s_mul_i32 s59, 0xc0, s2                                    // 0000000043A8: 923B02FF 000000C0
	s_mul_i32 s54, s6, s59                                     // 0000000043B0: 92363B06
	s_sub_i32 s61, s50, s59                                    // 0000000043B4: 81BD3B32
	s_mul_i32 s62, s6, s61                                     // 0000000043B8: 923E3D06
	s_lshr_b32 s62, s62, 2                                     // 0000000043BC: 8F3E823E
	s_mov_b32 s14, s62                                         // 0000000043C0: BE8E003E
	s_add_u32 s12, s54, s84                                    // 0000000043C4: 800C5436
	s_addc_u32 s13, 0, s85                                     // 0000000043C8: 820D5580
	s_mul_i32 s54, s7, s59                                     // 0000000043CC: 92363B07
	s_mul_i32 s62, s7, s61                                     // 0000000043D0: 923E3D07
	s_lshr_b32 s62, s62, 2                                     // 0000000043D4: 8F3E823E
	s_mov_b32 s18, s62                                         // 0000000043D8: BE92003E
	s_add_u32 s16, s54, s86                                    // 0000000043DC: 80105636
	s_addc_u32 s17, 0, s87                                     // 0000000043E0: 82115780
	s_mov_b32 s71, s6                                          // 0000000043E4: BEC70006
	v_lshrrev_b32_e32 v28, 4, v0                               // 0000000043E8: 20380084
	v_and_b32_e32 v29, 1, v28                                  // 0000000043EC: 263A3881
	v_lshlrev_b32_e32 v29, 1, v29                              // 0000000043F0: 243A3A81
	v_mul_i32_i24_e32 v29, s71, v29                            // 0000000043F4: 0C3A3A47
	v_and_b32_e32 v30, 2, v28                                  // 0000000043F8: 263C3882
	v_lshlrev_b32_e32 v30, 5, v30                              // 0000000043FC: 243C3C85
	v_add_u32_e32 v29, v30, v29                                // 000000004400: 683A3B1E
	v_and_b32_e32 v28, 15, v0                                  // 000000004404: 2638008F
	v_lshlrev_b32_e32 v28, 2, v28                              // 000000004408: 24383882
	v_add_u32_e32 v1, v28, v29                                 // 00000000440C: 68023B1C
	s_and_b32 s60, 1, s46                                      // 000000004410: 863C2E81
	s_mul_i32 s60, s60, s71                                    // 000000004414: 923C473C
	s_mul_i32 s60, s60, 8                                      // 000000004418: 923C883C
	s_lshr_b32 s61, s46, 1                                     // 00000000441C: 8F3D812E
	s_mul_i32 s61, s61, 0x80                                   // 000000004420: 923DFF3D 00000080
	s_add_u32 s60, s60, s61                                    // 000000004428: 803C3D3C
	v_add_u32_e32 v1, s60, v1                                  // 00000000442C: 6802023C
	v_add_u32_e32 v2, s71, v1                                  // 000000004430: 68040247
	s_mul_i32 s60, 4, s71                                      // 000000004434: 923C4784
	v_add_u32_e32 v3, s60, v1                                  // 000000004438: 6806023C
	v_add_u32_e32 v4, s60, v2                                  // 00000000443C: 6808043C
	s_mov_b32 s71, s7                                          // 000000004440: BEC70007
	v_lshrrev_b32_e32 v28, 4, v0                               // 000000004444: 20380084
	v_and_b32_e32 v29, 1, v28                                  // 000000004448: 263A3881
	v_lshlrev_b32_e32 v29, 1, v29                              // 00000000444C: 243A3A81
	v_mul_i32_i24_e32 v29, s71, v29                            // 000000004450: 0C3A3A47
	v_and_b32_e32 v30, 2, v28                                  // 000000004454: 263C3882
	v_lshlrev_b32_e32 v30, 5, v30                              // 000000004458: 243C3C85
	v_add_u32_e32 v29, v30, v29                                // 00000000445C: 683A3B1E
	v_and_b32_e32 v28, 15, v0                                  // 000000004460: 2638008F
	v_lshlrev_b32_e32 v28, 2, v28                              // 000000004464: 24383882
	v_add_u32_e32 v252, v28, v29                               // 000000004468: 69F83B1C
	s_and_b32 s60, 1, s46                                      // 00000000446C: 863C2E81
	s_mul_i32 s60, s60, s71                                    // 000000004470: 923C473C
	s_mul_i32 s60, s60, 8                                      // 000000004474: 923C883C
	s_lshr_b32 s61, s46, 1                                     // 000000004478: 8F3D812E
	s_mul_i32 s61, s61, 0x80                                   // 00000000447C: 923DFF3D 00000080
	s_add_u32 s60, s60, s61                                    // 000000004484: 803C3D3C
	v_add_u32_e32 v252, s60, v252                              // 000000004488: 69F9F83C
	v_add_u32_e32 v253, s71, v252                              // 00000000448C: 69FBF847
	s_mul_i32 s60, 4, s71                                      // 000000004490: 923C4784
	v_add_u32_e32 v254, s60, v252                              // 000000004494: 69FDF83C
	v_add_u32_e32 v255, s60, v253                              // 000000004498: 69FFFA3C
	v_lshrrev_b32_e32 v1, 2, v1                                // 00000000449C: 20020282
	v_lshrrev_b32_e32 v2, 2, v2                                // 0000000044A0: 20040482
	v_lshrrev_b32_e32 v3, 2, v3                                // 0000000044A4: 20060682
	v_lshrrev_b32_e32 v4, 2, v4                                // 0000000044A8: 20080882
	v_lshrrev_b32_e32 v252, 2, v252                            // 0000000044AC: 21F9F882
	v_lshrrev_b32_e32 v253, 2, v253                            // 0000000044B0: 21FBFA82
	v_lshrrev_b32_e32 v254, 2, v254                            // 0000000044B4: 21FDFC82
	v_lshrrev_b32_e32 v255, 2, v255                            // 0000000044B8: 21FFFE82
	s_mov_b32 s70, s52                                         // 0000000044BC: BEC60034
	v_lshrrev_b32_e32 v28, 4, v0                               // 0000000044C0: 20380084
	v_mul_i32_i24_e32 v5, s70, v28                             // 0000000044C4: 0C0A3846
	v_lshrrev_b32_e32 v5, 2, v5                                // 0000000044C8: 200A0A82
	v_and_b32_e32 v28, 15, v0                                  // 0000000044CC: 2638008F
	v_lshlrev_b32_e32 v29, 2, v28                              // 0000000044D0: 243A3882
	v_add_u32_e32 v5, v29, v5                                  // 0000000044D4: 680A0B1D
	s_mul_i32 s60, 16, s70                                     // 0000000044D8: 923C4690
	s_mul_i32 s60, s46, s60                                    // 0000000044DC: 923C3C2E
	v_lshlrev_b32_e32 v5, 2, v5                                // 0000000044E0: 240A0A82
	v_add_u32_e32 v5, s60, v5                                  // 0000000044E4: 680A0A3C
	s_mul_i32 s60, s52, s59                                    // 0000000044E8: 923C3B34
	v_add_u32_e32 v5, s60, v5                                  // 0000000044EC: 680A0A3C
	v_lshrrev_b32_e32 v5, 2, v5                                // 0000000044F0: 200A0A82
	s_mov_b32 s70, s53                                         // 0000000044F4: BEC60035
	v_lshrrev_b32_e32 v28, 4, v0                               // 0000000044F8: 20380084
	v_mul_i32_i24_e32 v6, s70, v28                             // 0000000044FC: 0C0C3846
	v_lshrrev_b32_e32 v6, 2, v6                                // 000000004500: 200C0C82
	v_and_b32_e32 v28, 15, v0                                  // 000000004504: 2638008F
	v_lshlrev_b32_e32 v29, 2, v28                              // 000000004508: 243A3882
	v_add_u32_e32 v6, v29, v6                                  // 00000000450C: 680C0D1D
	s_mul_i32 s60, 16, s70                                     // 000000004510: 923C4690
	s_mul_i32 s60, s46, s60                                    // 000000004514: 923C3C2E
	v_lshlrev_b32_e32 v6, 2, v6                                // 000000004518: 240C0C82
	v_add_u32_e32 v6, s60, v6                                  // 00000000451C: 680C0C3C
	s_mul_i32 s60, s53, s59                                    // 000000004520: 923C3B35
	v_add_u32_e32 v6, s60, v6                                  // 000000004524: 680C0C3C
	v_lshrrev_b32_e32 v6, 2, v6                                // 000000004528: 200C0C82
	s_cmp_ge_i32 s59, s49                                      // 00000000452C: BF03313B
	s_cselect_b32 s59, s49, s59                                // 000000004530: 853B3B31
	s_add_u32 s73, 16, s59                                     // 000000004534: 80493B90
	s_mul_i32 s55, s5, s59                                     // 000000004538: 92373B05
	s_sub_i32 s61, s49, s59                                    // 00000000453C: 81BD3B31
	s_mul_i32 s62, s5, s61                                     // 000000004540: 923E3D05
	s_lshr_b32 s62, s62, 2                                     // 000000004544: 8F3E823E
	s_mov_b32 s10, s62                                         // 000000004548: BE8A003E
	s_add_u32 s8, s55, s82                                     // 00000000454C: 80085237
	s_addc_u32 s9, 0, s83                                      // 000000004550: 82095380
	s_mul_i32 s56, s51, s59                                    // 000000004554: 92383B33
	s_mul_i32 s62, s51, s61                                    // 000000004558: 923E3D33
	s_lshr_b32 s62, s62, 2                                     // 00000000455C: 8F3E823E
	s_mov_b32 s22, s62                                         // 000000004560: BE96003E
	s_add_u32 s20, s56, s88                                    // 000000004564: 80145838
	s_addc_u32 s21, 0, s89                                     // 000000004568: 82155980
	s_mul_i32 s65, s59, 4                                      // 00000000456C: 9241843B
	v_and_b32_e32 v9, 15, v0                                   // 000000004570: 2612008F
	v_lshlrev_b32_e32 v9, 2, v9                                // 000000004574: 24121282
	v_add_u32_e32 v9, s65, v9                                  // 000000004578: 68121241
	v_lshrrev_b32_e32 v9, 2, v9                                // 00000000457C: 20121282
	v_lshrrev_b32_e32 v28, 5, v0                               // 000000004580: 20380085
	v_mul_i32_i24_e64 v29, s98, 2                              // 000000004584: D106001D 00010462
	v_mul_i32_i24_e32 v7, v29, v28                             // 00000000458C: 0C0E391D
	v_and_b32_e32 v28, 31, v0                                  // 000000004590: 2638009F
	v_add_u32_e32 v7, v28, v7                                  // 000000004594: 680E0F1C
	s_mul_i32 s60, 4, s98                                      // 000000004598: 923C6284
	s_mul_i32 s60, s46, s60                                    // 00000000459C: 923C3C2E
	v_add_u32_e32 v7, s60, v7                                  // 0000000045A0: 680E0E3C
	v_lshlrev_b32_e32 v7, 2, v7                                // 0000000045A4: 240E0E82
	v_mul_i32_i24_e32 v29, 2, v29                              // 0000000045A8: 0C3A3A82
	v_add_u32_e32 v8, v29, v7                                  // 0000000045AC: 68100F1D
	s_mul_i32 s60, s98, s65                                    // 0000000045B0: 923C4162
	v_add_u32_e32 v7, s60, v7                                  // 0000000045B4: 680E0E3C
	v_add_u32_e32 v8, s60, v8                                  // 0000000045B8: 6810103C
	s_mul_i32 s60, 3, s2                                       // 0000000045BC: 923C0283
	s_add_u32 s61, s50, 63                                     // 0000000045C0: 803DBF32
	s_lshr_b32 s61, s61, 6                                     // 0000000045C4: 8F3D863D
	s_sub_i32 s72, s61, s60                                    // 0000000045C8: 81C83C3D
	s_cmp_lt_i32 s72, 3                                        // 0000000045CC: BF048348
	s_cselect_b32 s72, s72, 3                                  // 0000000045D0: 85488348
	s_mul_i32 s60, 0xc0, s2                                    // 0000000045D4: 923C02FF 000000C0
	s_sub_i32 s100, s50, s60                                   // 0000000045DC: 81E43C32
	v_and_b32_e32 v28, 31, v0                                  // 0000000045E0: 2638009F
	v_lshrrev_b32_e32 v28, 1, v28                              // 0000000045E4: 20383881
	v_and_b32_e32 v29, 1, v28                                  // 0000000045E8: 263A3881
	v_lshlrev_b32_e32 v29, 4, v29                              // 0000000045EC: 243A3A84
	v_and_b32_e32 v30, 2, v28                                  // 0000000045F0: 263C3882
	v_lshlrev_b32_e32 v30, 2, v30                              // 0000000045F4: 243C3C82
	v_add_u32_e32 v29, v30, v29                                // 0000000045F8: 683A3B1E
	v_and_b32_e32 v30, 12, v28                                 // 0000000045FC: 263C388C
	v_lshrrev_b32_e32 v30, 1, v30                              // 000000004600: 203C3C81
	v_add_u32_e32 v29, v30, v29                                // 000000004604: 683A3B1E
	v_lshrrev_b32_e32 v28, 5, v0                               // 000000004608: 20380085
	v_mul_i32_i24_e32 v30, 0x80, v28                           // 00000000460C: 0C3C38FF 00000080
	v_add_u32_e32 v29, v30, v29                                // 000000004614: 683A3B1E
	v_and_b32_e32 v30, 1, v0                                   // 000000004618: 263C0081
	v_add_u32_e32 v11, v30, v29                                // 00000000461C: 68163B1E
	s_and_b32 s60, 1, s46                                      // 000000004620: 863C2E81
	s_mul_i32 s60, s60, 64                                     // 000000004624: 923CC03C
	s_lshr_b32 s61, s46, 1                                     // 000000004628: 8F3D812E
	s_mul_i32 s61, s61, 0x220                                  // 00000000462C: 923DFF3D 00000220
	s_add_u32 s60, s60, s61                                    // 000000004634: 803C3D3C
	v_add_u32_e32 v11, s60, v11                                // 000000004638: 6816163C
	v_lshlrev_b32_e32 v11, 2, v11                              // 00000000463C: 24161682
	v_lshrrev_b32_e32 v28, 4, v0                               // 000000004640: 20380084
	v_and_b32_e32 v29, 1, v28                                  // 000000004644: 263A3881
	v_lshlrev_b32_e32 v29, 4, v29                              // 000000004648: 243A3A84
	v_and_b32_e32 v30, 2, v28                                  // 00000000464C: 263C3882
	v_mul_i32_i24_e32 v30, 4, v30                              // 000000004650: 0C3C3C84
	v_add_u32_e32 v29, v30, v29                                // 000000004654: 683A3B1E
	v_and_b32_e32 v28, 15, v0                                  // 000000004658: 2638008F
	v_lshrrev_b32_e32 v30, 2, v28                              // 00000000465C: 203C3882
	v_lshlrev_b32_e32 v30, 5, v30                              // 000000004660: 243C3C85
	v_add_u32_e32 v29, v30, v29                                // 000000004664: 683A3B1E
	v_and_b32_e32 v28, 3, v0                                   // 000000004668: 26380083
	v_and_b32_e32 v30, 1, v28                                  // 00000000466C: 263C3881
	v_mul_i32_i24_e32 v30, 0x108, v30                          // 000000004670: 0C3C3CFF 00000108
	v_add_u32_e32 v29, v30, v29                                // 000000004678: 683A3B1E
	v_and_b32_e32 v30, 2, v28                                  // 00000000467C: 263C3882
	v_lshlrev_b32_e32 v30, 1, v30                              // 000000004680: 243C3C81
	v_add_u32_e32 v10, v30, v29                                // 000000004684: 68143B1E
	v_lshlrev_b32_e32 v10, 2, v10                              // 000000004688: 24141482
	s_mul_i32 s60, s46, 0x1100                                 // 00000000468C: 923CFF2E 00001100
	v_add_u32_e32 v22, s60, v10                                // 000000004694: 682C143C
	v_lshrrev_b32_e32 v28, 5, v0                               // 000000004698: 20380085
	v_mul_i32_i24_e32 v13, 0x80, v28                           // 00000000469C: 0C1A38FF 00000080
	v_and_b32_e32 v28, 31, v0                                  // 0000000046A4: 2638009F
	v_and_b32_e32 v29, 7, v28                                  // 0000000046A8: 263A3887
	v_and_b32_e32 v30, 1, v29                                  // 0000000046AC: 263C3A81
	v_lshlrev_b32_e32 v30, 2, v30                              // 0000000046B0: 243C3C82
	v_add_u32_e32 v13, v30, v13                                // 0000000046B4: 681A1B1E
	v_and_b32_e32 v30, 2, v29                                  // 0000000046B8: 263C3A82
	v_lshlrev_b32_e32 v30, 3, v30                              // 0000000046BC: 243C3C83
	v_add_u32_e32 v13, v30, v13                                // 0000000046C0: 681A1B1E
	v_and_b32_e32 v30, 4, v29                                  // 0000000046C4: 263C3A84
	v_lshlrev_b32_e32 v30, 1, v30                              // 0000000046C8: 243C3C81
	v_add_u32_e32 v13, v30, v13                                // 0000000046CC: 681A1B1E
	v_lshrrev_b32_e32 v29, 3, v28                              // 0000000046D0: 203A3883
	v_and_b32_e32 v30, 1, v29                                  // 0000000046D4: 263C3A81
	v_lshlrev_b32_e32 v30, 1, v30                              // 0000000046D8: 243C3C81
	v_add_u32_e32 v13, v30, v13                                // 0000000046DC: 681A1B1E
	v_and_b32_e32 v30, 2, v29                                  // 0000000046E0: 263C3A82
	v_lshrrev_b32_e32 v30, 1, v30                              // 0000000046E4: 203C3C81
	v_add_u32_e32 v13, v30, v13                                // 0000000046E8: 681A1B1E
	s_and_b32 s60, 1, s46                                      // 0000000046EC: 863C2E81
	s_mul_i32 s60, s60, 64                                     // 0000000046F0: 923CC03C
	s_lshr_b32 s61, s46, 1                                     // 0000000046F4: 8F3D812E
	s_mul_i32 s61, s61, 0x220                                  // 0000000046F8: 923DFF3D 00000220
	s_add_u32 s60, s60, s61                                    // 000000004700: 803C3D3C
	v_add_u32_e32 v13, s60, v13                                // 000000004704: 681A1A3C
	v_lshlrev_b32_e32 v13, 2, v13                              // 000000004708: 241A1A82
	v_and_b32_e32 v28, 15, v0                                  // 00000000470C: 2638008F
	v_and_b32_e32 v30, 1, v28                                  // 000000004710: 263C3881
	v_mul_i32_i24_e32 v12, 0x108, v30                          // 000000004714: 0C183CFF 00000108
	v_and_b32_e32 v30, 2, v28                                  // 00000000471C: 263C3882
	v_lshlrev_b32_e32 v30, 1, v30                              // 000000004720: 243C3C81
	v_add_u32_e32 v12, v30, v12                                // 000000004724: 6818191E
	v_and_b32_e32 v30, 4, v28                                  // 000000004728: 263C3884
	v_lshlrev_b32_e32 v30, 2, v30                              // 00000000472C: 243C3C82
	v_add_u32_e32 v12, v30, v12                                // 000000004730: 6818191E
	v_and_b32_e32 v30, 8, v28                                  // 000000004734: 263C3888
	v_add_u32_e32 v12, v30, v12                                // 000000004738: 6818191E
	v_lshrrev_b32_e32 v28, 4, v0                               // 00000000473C: 20380084
	v_and_b32_e32 v30, 1, v28                                  // 000000004740: 263C3881
	v_lshlrev_b32_e32 v30, 5, v30                              // 000000004744: 243C3C85
	v_add_u32_e32 v12, v30, v12                                // 000000004748: 6818191E
	v_and_b32_e32 v29, 2, v28                                  // 00000000474C: 263A3882
	v_mul_i32_i24_e32 v30, 32, v29                             // 000000004750: 0C3C3AA0
	v_mul_i32_i24_e32 v29, 0x220, v29                          // 000000004754: 0C3A3AFF 00000220
	v_add_u32_e32 v23, v29, v12                                // 00000000475C: 682E191D
	v_add_u32_e32 v12, v30, v12                                // 000000004760: 6818191E
	v_lshlrev_b32_e32 v12, 2, v12                              // 000000004764: 24181882
	v_lshlrev_b32_e32 v23, 2, v23                              // 000000004768: 242E2E82
	s_and_b32 s60, 1, s46                                      // 00000000476C: 863C2E81
	s_mul_i32 s60, s60, 0x200                                  // 000000004770: 923CFF3C 00000200
	s_lshr_b32 s61, s46, 1                                     // 000000004778: 8F3D812E
	s_mul_i32 s61, s61, 0x880                                  // 00000000477C: 923DFF3D 00000880
	s_add_u32 s60, s60, s61                                    // 000000004784: 803C3D3C
	v_add_u32_e32 v23, s60, v23                                // 000000004788: 682E2E3C
	v_lshrrev_b32_e32 v28, 4, v0                               // 00000000478C: 20380084
	v_mul_i32_i24_e32 v21, 4, v28                              // 000000004790: 0C2A3884
	v_and_b32_e32 v29, 3, v0                                   // 000000004794: 263A0083
	v_add_u32_e32 v21, v29, v21                                // 000000004798: 682A2B1D
	v_lshlrev_b32_e32 v21, 2, v21                              // 00000000479C: 242A2A82
	v_lshrrev_b32_e32 v28, 4, v0                               // 0000000047A0: 20380084
	v_and_b32_e32 v29, 1, v28                                  // 0000000047A4: 263A3881
	v_mul_i32_i24_e32 v19, 0x100, v29                          // 0000000047A8: 0C263AFF 00000100
	v_and_b32_e32 v29, 2, v28                                  // 0000000047B0: 263A3882
	v_mul_i32_i24_e32 v29, 64, v29                             // 0000000047B4: 0C3A3AC0
	v_add_u32_e32 v19, v29, v19                                // 0000000047B8: 6826271D
	v_and_b32_e32 v28, 15, v0                                  // 0000000047BC: 2638008F
	v_mul_i32_i24_e32 v29, 2, v28                              // 0000000047C0: 0C3A3882
	v_add_u32_e32 v19, v29, v19                                // 0000000047C4: 6826271D
	s_mul_i32 s60, s46, 32                                     // 0000000047C8: 923CA02E
	v_add_u32_e32 v19, s60, v19                                // 0000000047CC: 6826263C
	v_lshlrev_b32_e32 v19, 2, v19                              // 0000000047D0: 24262682
	v_lshlrev_b32_e32 v20, 1, v0                               // 0000000047D4: 24280081
	s_mul_i32 s60, s46, 0x200                                  // 0000000047D8: 923CFF2E 00000200
	v_add_u32_e32 v20, s60, v20                                // 0000000047E0: 6828283C
	v_lshlrev_b32_e32 v20, 2, v20                              // 0000000047E4: 24282882
	v_lshrrev_b32_e32 v28, 5, v0                               // 0000000047E8: 20380085
	v_mul_i32_i24_e32 v17, 64, v28                             // 0000000047EC: 0C2238C0
	v_and_b32_e32 v28, 31, v0                                  // 0000000047F0: 2638009F
	v_and_b32_e32 v28, 3, v28                                  // 0000000047F4: 26383883
	v_and_b32_e32 v29, 1, v28                                  // 0000000047F8: 263A3881
	v_mul_i32_i24_e32 v29, 4, v29                              // 0000000047FC: 0C3A3A84
	v_add_u32_e32 v17, v29, v17                                // 000000004800: 6822231D
	v_and_b32_e32 v29, 2, v28                                  // 000000004804: 263A3882
	v_mul_i32_i24_e32 v29, 0x44, v29                           // 000000004808: 0C3A3AFF 00000044
	v_add_u32_e32 v17, v29, v17                                // 000000004810: 6822231D
	v_and_b32_e32 v28, 31, v0                                  // 000000004814: 2638009F
	v_lshrrev_b32_e32 v28, 2, v28                              // 000000004818: 20383882
	v_lshrrev_b32_e32 v30, 2, v28                              // 00000000481C: 203C3882
	v_mul_i32_i24_e32 v29, 16, v30                             // 000000004820: 0C3A3C90
	v_add_u32_e32 v17, v29, v17                                // 000000004824: 6822231D
	v_and_b32_e32 v29, 2, v28                                  // 000000004828: 263A3882
	v_lshlrev_b32_e32 v29, 4, v29                              // 00000000482C: 243A3A84
	v_add_u32_e32 v17, v29, v17                                // 000000004830: 6822231D
	v_and_b32_e32 v29, 1, v28                                  // 000000004834: 263A3881
	v_xor_b32_e32 v29, v30, v29                                // 000000004838: 2A3A3B1E
	v_mul_i32_i24_e32 v29, 8, v29                              // 00000000483C: 0C3A3A88
	v_add_u32_e32 v17, v29, v17                                // 000000004840: 6822231D
	v_lshlrev_b32_e32 v17, 2, v17                              // 000000004844: 24222282
	v_lshrrev_b32_e32 v28, 5, v0                               // 000000004848: 20380085
	v_mul_i32_i24_e32 v18, 32, v28                             // 00000000484C: 0C2438A0
	v_and_b32_e32 v28, 31, v0                                  // 000000004850: 2638009F
	v_and_b32_e32 v28, 3, v28                                  // 000000004854: 26383883
	v_and_b32_e32 v29, 1, v28                                  // 000000004858: 263A3881
	v_mul_i32_i24_e32 v29, 4, v29                              // 00000000485C: 0C3A3A84
	v_add_u32_e32 v18, v29, v18                                // 000000004860: 6824251D
	v_and_b32_e32 v29, 2, v28                                  // 000000004864: 263A3882
	v_lshrrev_b32_e32 v29, 1, v29                              // 000000004868: 203A3A81
	v_add_u32_e32 v18, v29, v18                                // 00000000486C: 6824251D
	v_and_b32_e32 v28, 31, v0                                  // 000000004870: 2638009F
	v_lshrrev_b32_e32 v28, 2, v28                              // 000000004874: 20383882
	v_and_b32_e32 v30, 1, v28                                  // 000000004878: 263C3881
	v_mul_i32_i24_e32 v29, 16, v30                             // 00000000487C: 0C3A3C90
	v_add_u32_e32 v18, v29, v18                                // 000000004880: 6824251D
	v_and_b32_e32 v29, 2, v28                                  // 000000004884: 263A3882
	v_add_u32_e32 v18, v29, v18                                // 000000004888: 6824251D
	v_lshrrev_b32_e32 v29, 2, v28                              // 00000000488C: 203A3882
	v_xor_b32_e32 v29, v30, v29                                // 000000004890: 2A3A3B1E
	v_mul_i32_i24_e32 v29, 8, v29                              // 000000004894: 0C3A3A88
	v_add_u32_e32 v18, v29, v18                                // 000000004898: 6824251D
	s_and_b32 s60, 1, s46                                      // 00000000489C: 863C2E81
	s_mul_i32 s60, s60, 64                                     // 0000000048A0: 923CC03C
	s_lshr_b32 s61, s46, 1                                     // 0000000048A4: 8F3D812E
	s_mul_i32 s61, s61, 0x120                                  // 0000000048A8: 923DFF3D 00000120
	s_add_u32 s60, s60, s61                                    // 0000000048B0: 803C3D3C
	v_add_u32_e32 v18, s60, v18                                // 0000000048B4: 6824243C
	v_lshlrev_b32_e32 v18, 2, v18                              // 0000000048B8: 24242482
	v_mov_b32_e32 v152, 0                                      // 0000000048BC: 7F300280
	s_mov_b64 exec, s[90:91]                                   // 0000000048C0: BEFE015A
	buffer_load_dword v152, v1, s[12:15], 0 idxen              // 0000000048C4: E0502000 80039801
	s_mov_b32 exec_lo, -1                                      // 0000000048CC: BEFE00C1
	s_mov_b32 exec_hi, -1                                      // 0000000048D0: BEFF00C1
	v_mov_b32_e32 v153, 0                                      // 0000000048D4: 7F320280
	s_mov_b64 exec, s[90:91]                                   // 0000000048D8: BEFE015A
	buffer_load_dword v153, v2, s[12:15], 0 idxen              // 0000000048DC: E0502000 80039902
	s_mov_b32 exec_lo, -1                                      // 0000000048E4: BEFE00C1
	s_mov_b32 exec_hi, -1                                      // 0000000048E8: BEFF00C1
	v_mov_b32_e32 v154, 0                                      // 0000000048EC: 7F340280
	s_mov_b64 exec, s[90:91]                                   // 0000000048F0: BEFE015A
	buffer_load_dword v154, v3, s[12:15], 0 idxen              // 0000000048F4: E0502000 80039A03
	s_mov_b32 exec_lo, -1                                      // 0000000048FC: BEFE00C1
	s_mov_b32 exec_hi, -1                                      // 000000004900: BEFF00C1
	v_mov_b32_e32 v155, 0                                      // 000000004904: 7F360280
	s_mov_b64 exec, s[90:91]                                   // 000000004908: BEFE015A
	buffer_load_dword v155, v4, s[12:15], 0 idxen              // 00000000490C: E0502000 80039B04
	s_mov_b32 exec_lo, -1                                      // 000000004914: BEFE00C1
	s_mov_b32 exec_hi, -1                                      // 000000004918: BEFF00C1
	s_mul_i32 s60, 4, s6                                       // 00000000491C: 923C0684
	s_cmp_lt_i32 0, s72                                        // 000000004920: BF044880
	s_cselect_b32 s60, s60, 0                                  // 000000004924: 853C803C
	v_add_u32_e32 v1, s60, v1                                  // 000000004928: 6802023C
	v_add_u32_e32 v2, s60, v2                                  // 00000000492C: 6804043C
	v_add_u32_e32 v3, s60, v3                                  // 000000004930: 6806063C
	v_add_u32_e32 v4, s60, v4                                  // 000000004934: 6808083C
	v_mov_b32_e32 v156, 0                                      // 000000004938: 7F380280
	s_mov_b64 exec, s[90:91]                                   // 00000000493C: BEFE015A
	buffer_load_dword v156, v1, s[12:15], 0 idxen              // 000000004940: E0502000 80039C01
	s_mov_b32 exec_lo, -1                                      // 000000004948: BEFE00C1
	s_mov_b32 exec_hi, -1                                      // 00000000494C: BEFF00C1
	v_mov_b32_e32 v157, 0                                      // 000000004950: 7F3A0280
	s_mov_b64 exec, s[90:91]                                   // 000000004954: BEFE015A
	buffer_load_dword v157, v2, s[12:15], 0 idxen              // 000000004958: E0502000 80039D02
	s_mov_b32 exec_lo, -1                                      // 000000004960: BEFE00C1
	s_mov_b32 exec_hi, -1                                      // 000000004964: BEFF00C1
	v_mov_b32_e32 v158, 0                                      // 000000004968: 7F3C0280
	s_mov_b64 exec, s[90:91]                                   // 00000000496C: BEFE015A
	buffer_load_dword v158, v3, s[12:15], 0 idxen              // 000000004970: E0502000 80039E03
	s_mov_b32 exec_lo, -1                                      // 000000004978: BEFE00C1
	s_mov_b32 exec_hi, -1                                      // 00000000497C: BEFF00C1
	v_mov_b32_e32 v159, 0                                      // 000000004980: 7F3E0280
	s_mov_b64 exec, s[90:91]                                   // 000000004984: BEFE015A
	buffer_load_dword v159, v4, s[12:15], 0 idxen              // 000000004988: E0502000 80039F04
	s_mov_b32 exec_lo, -1                                      // 000000004990: BEFE00C1
	s_mov_b32 exec_hi, -1                                      // 000000004994: BEFF00C1
	s_mul_i32 s60, 4, s6                                       // 000000004998: 923C0684
	s_cmp_lt_i32 0, s72                                        // 00000000499C: BF044880
	s_cselect_b32 s60, s60, 0                                  // 0000000049A0: 853C803C
	v_add_u32_e32 v1, s60, v1                                  // 0000000049A4: 6802023C
	v_add_u32_e32 v2, s60, v2                                  // 0000000049A8: 6804043C
	v_add_u32_e32 v3, s60, v3                                  // 0000000049AC: 6806063C
	v_add_u32_e32 v4, s60, v4                                  // 0000000049B0: 6808083C
	v_mov_b32_e32 v160, 0                                      // 0000000049B4: 7F400280
	s_mov_b64 exec, s[90:91]                                   // 0000000049B8: BEFE015A
	buffer_load_dword v160, v1, s[12:15], 0 idxen              // 0000000049BC: E0502000 8003A001
	s_mov_b32 exec_lo, -1                                      // 0000000049C4: BEFE00C1
	s_mov_b32 exec_hi, -1                                      // 0000000049C8: BEFF00C1
	v_mov_b32_e32 v161, 0                                      // 0000000049CC: 7F420280
	s_mov_b64 exec, s[90:91]                                   // 0000000049D0: BEFE015A
	buffer_load_dword v161, v2, s[12:15], 0 idxen              // 0000000049D4: E0502000 8003A102
	s_mov_b32 exec_lo, -1                                      // 0000000049DC: BEFE00C1
	s_mov_b32 exec_hi, -1                                      // 0000000049E0: BEFF00C1
	v_mov_b32_e32 v162, 0                                      // 0000000049E4: 7F440280
	s_mov_b64 exec, s[90:91]                                   // 0000000049E8: BEFE015A
	buffer_load_dword v162, v3, s[12:15], 0 idxen              // 0000000049EC: E0502000 8003A203
	s_mov_b32 exec_lo, -1                                      // 0000000049F4: BEFE00C1
	s_mov_b32 exec_hi, -1                                      // 0000000049F8: BEFF00C1
	v_mov_b32_e32 v163, 0                                      // 0000000049FC: 7F460280
	s_mov_b64 exec, s[90:91]                                   // 000000004A00: BEFE015A
	buffer_load_dword v163, v4, s[12:15], 0 idxen              // 000000004A04: E0502000 8003A304
	s_mov_b32 exec_lo, -1                                      // 000000004A0C: BEFE00C1
	s_mov_b32 exec_hi, -1                                      // 000000004A10: BEFF00C1
	s_mul_i32 s60, 4, s6                                       // 000000004A14: 923C0684
	s_cmp_lt_i32 0, s72                                        // 000000004A18: BF044880
	s_cselect_b32 s60, s60, 0                                  // 000000004A1C: 853C803C
	v_add_u32_e32 v1, s60, v1                                  // 000000004A20: 6802023C
	v_add_u32_e32 v2, s60, v2                                  // 000000004A24: 6804043C
	v_add_u32_e32 v3, s60, v3                                  // 000000004A28: 6806063C
	v_add_u32_e32 v4, s60, v4                                  // 000000004A2C: 6808083C
	v_mov_b32_e32 v164, 0                                      // 000000004A30: 7F480280
	s_mov_b64 exec, s[90:91]                                   // 000000004A34: BEFE015A
	buffer_load_dword v164, v1, s[12:15], 0 idxen              // 000000004A38: E0502000 8003A401
	s_mov_b32 exec_lo, -1                                      // 000000004A40: BEFE00C1
	s_mov_b32 exec_hi, -1                                      // 000000004A44: BEFF00C1
	v_mov_b32_e32 v165, 0                                      // 000000004A48: 7F4A0280
	s_mov_b64 exec, s[90:91]                                   // 000000004A4C: BEFE015A
	buffer_load_dword v165, v2, s[12:15], 0 idxen              // 000000004A50: E0502000 8003A502
	s_mov_b32 exec_lo, -1                                      // 000000004A58: BEFE00C1
	s_mov_b32 exec_hi, -1                                      // 000000004A5C: BEFF00C1
	v_mov_b32_e32 v166, 0                                      // 000000004A60: 7F4C0280
	s_mov_b64 exec, s[90:91]                                   // 000000004A64: BEFE015A
	buffer_load_dword v166, v3, s[12:15], 0 idxen              // 000000004A68: E0502000 8003A603
	s_mov_b32 exec_lo, -1                                      // 000000004A70: BEFE00C1
	s_mov_b32 exec_hi, -1                                      // 000000004A74: BEFF00C1
	v_mov_b32_e32 v167, 0                                      // 000000004A78: 7F4E0280
	s_mov_b64 exec, s[90:91]                                   // 000000004A7C: BEFE015A
	buffer_load_dword v167, v4, s[12:15], 0 idxen              // 000000004A80: E0502000 8003A704
	s_mov_b32 exec_lo, -1                                      // 000000004A88: BEFE00C1
	s_mov_b32 exec_hi, -1                                      // 000000004A8C: BEFF00C1
	s_mul_i32 s60, 4, s6                                       // 000000004A90: 923C0684
	s_cmp_lt_i32 1, s72                                        // 000000004A94: BF044881
	s_cselect_b32 s60, s60, 0                                  // 000000004A98: 853C803C
	v_add_u32_e32 v1, s60, v1                                  // 000000004A9C: 6802023C
	v_add_u32_e32 v2, s60, v2                                  // 000000004AA0: 6804043C
	v_add_u32_e32 v3, s60, v3                                  // 000000004AA4: 6806063C
	v_add_u32_e32 v4, s60, v4                                  // 000000004AA8: 6808083C
	v_mov_b32_e32 v168, 0                                      // 000000004AAC: 7F500280
	s_mov_b64 exec, s[90:91]                                   // 000000004AB0: BEFE015A
	buffer_load_dword v168, v1, s[12:15], 0 idxen              // 000000004AB4: E0502000 8003A801
	s_mov_b32 exec_lo, -1                                      // 000000004ABC: BEFE00C1
	s_mov_b32 exec_hi, -1                                      // 000000004AC0: BEFF00C1
	v_mov_b32_e32 v169, 0                                      // 000000004AC4: 7F520280
	s_mov_b64 exec, s[90:91]                                   // 000000004AC8: BEFE015A
	buffer_load_dword v169, v2, s[12:15], 0 idxen              // 000000004ACC: E0502000 8003A902
	s_mov_b32 exec_lo, -1                                      // 000000004AD4: BEFE00C1
	s_mov_b32 exec_hi, -1                                      // 000000004AD8: BEFF00C1
	v_mov_b32_e32 v170, 0                                      // 000000004ADC: 7F540280
	s_mov_b64 exec, s[90:91]                                   // 000000004AE0: BEFE015A
	buffer_load_dword v170, v3, s[12:15], 0 idxen              // 000000004AE4: E0502000 8003AA03
	s_mov_b32 exec_lo, -1                                      // 000000004AEC: BEFE00C1
	s_mov_b32 exec_hi, -1                                      // 000000004AF0: BEFF00C1
	v_mov_b32_e32 v171, 0                                      // 000000004AF4: 7F560280
	s_mov_b64 exec, s[90:91]                                   // 000000004AF8: BEFE015A
	buffer_load_dword v171, v4, s[12:15], 0 idxen              // 000000004AFC: E0502000 8003AB04
	s_mov_b32 exec_lo, -1                                      // 000000004B04: BEFE00C1
	s_mov_b32 exec_hi, -1                                      // 000000004B08: BEFF00C1
	s_mul_i32 s60, 4, s6                                       // 000000004B0C: 923C0684
	s_cmp_lt_i32 1, s72                                        // 000000004B10: BF044881
	s_cselect_b32 s60, s60, 0                                  // 000000004B14: 853C803C
	v_add_u32_e32 v1, s60, v1                                  // 000000004B18: 6802023C
	v_add_u32_e32 v2, s60, v2                                  // 000000004B1C: 6804043C
	v_add_u32_e32 v3, s60, v3                                  // 000000004B20: 6806063C
	v_add_u32_e32 v4, s60, v4                                  // 000000004B24: 6808083C
	v_mov_b32_e32 v172, 0                                      // 000000004B28: 7F580280
	s_mov_b64 exec, s[90:91]                                   // 000000004B2C: BEFE015A
	buffer_load_dword v172, v1, s[12:15], 0 idxen              // 000000004B30: E0502000 8003AC01
	s_mov_b32 exec_lo, -1                                      // 000000004B38: BEFE00C1
	s_mov_b32 exec_hi, -1                                      // 000000004B3C: BEFF00C1
	v_mov_b32_e32 v173, 0                                      // 000000004B40: 7F5A0280
	s_mov_b64 exec, s[90:91]                                   // 000000004B44: BEFE015A
	buffer_load_dword v173, v2, s[12:15], 0 idxen              // 000000004B48: E0502000 8003AD02
	s_mov_b32 exec_lo, -1                                      // 000000004B50: BEFE00C1
	s_mov_b32 exec_hi, -1                                      // 000000004B54: BEFF00C1
	v_mov_b32_e32 v174, 0                                      // 000000004B58: 7F5C0280
	s_mov_b64 exec, s[90:91]                                   // 000000004B5C: BEFE015A
	buffer_load_dword v174, v3, s[12:15], 0 idxen              // 000000004B60: E0502000 8003AE03
	s_mov_b32 exec_lo, -1                                      // 000000004B68: BEFE00C1
	s_mov_b32 exec_hi, -1                                      // 000000004B6C: BEFF00C1
	v_mov_b32_e32 v175, 0                                      // 000000004B70: 7F5E0280
	s_mov_b64 exec, s[90:91]                                   // 000000004B74: BEFE015A
	buffer_load_dword v175, v4, s[12:15], 0 idxen              // 000000004B78: E0502000 8003AF04
	s_mov_b32 exec_lo, -1                                      // 000000004B80: BEFE00C1
	s_mov_b32 exec_hi, -1                                      // 000000004B84: BEFF00C1
	s_mul_i32 s60, 4, s6                                       // 000000004B88: 923C0684
	s_cmp_lt_i32 1, s72                                        // 000000004B8C: BF044881
	s_cselect_b32 s60, s60, 0                                  // 000000004B90: 853C803C
	v_add_u32_e32 v1, s60, v1                                  // 000000004B94: 6802023C
	v_add_u32_e32 v2, s60, v2                                  // 000000004B98: 6804043C
	v_add_u32_e32 v3, s60, v3                                  // 000000004B9C: 6806063C
	v_add_u32_e32 v4, s60, v4                                  // 000000004BA0: 6808083C
	v_mov_b32_e32 v176, 0                                      // 000000004BA4: 7F600280
	s_mov_b64 exec, s[90:91]                                   // 000000004BA8: BEFE015A
	buffer_load_dword v176, v1, s[12:15], 0 idxen              // 000000004BAC: E0502000 8003B001
	s_mov_b32 exec_lo, -1                                      // 000000004BB4: BEFE00C1
	s_mov_b32 exec_hi, -1                                      // 000000004BB8: BEFF00C1
	v_mov_b32_e32 v177, 0                                      // 000000004BBC: 7F620280
	s_mov_b64 exec, s[90:91]                                   // 000000004BC0: BEFE015A
	buffer_load_dword v177, v2, s[12:15], 0 idxen              // 000000004BC4: E0502000 8003B102
	s_mov_b32 exec_lo, -1                                      // 000000004BCC: BEFE00C1
	s_mov_b32 exec_hi, -1                                      // 000000004BD0: BEFF00C1
	v_mov_b32_e32 v178, 0                                      // 000000004BD4: 7F640280
	s_mov_b64 exec, s[90:91]                                   // 000000004BD8: BEFE015A
	buffer_load_dword v178, v3, s[12:15], 0 idxen              // 000000004BDC: E0502000 8003B203
	s_mov_b32 exec_lo, -1                                      // 000000004BE4: BEFE00C1
	s_mov_b32 exec_hi, -1                                      // 000000004BE8: BEFF00C1
	v_mov_b32_e32 v179, 0                                      // 000000004BEC: 7F660280
	s_mov_b64 exec, s[90:91]                                   // 000000004BF0: BEFE015A
	buffer_load_dword v179, v4, s[12:15], 0 idxen              // 000000004BF4: E0502000 8003B304
	s_mov_b32 exec_lo, -1                                      // 000000004BFC: BEFE00C1
	s_mov_b32 exec_hi, -1                                      // 000000004C00: BEFF00C1
	s_mul_i32 s60, 4, s6                                       // 000000004C04: 923C0684
	s_cmp_lt_i32 1, s72                                        // 000000004C08: BF044881
	s_cselect_b32 s60, s60, 0                                  // 000000004C0C: 853C803C
	v_add_u32_e32 v1, s60, v1                                  // 000000004C10: 6802023C
	v_add_u32_e32 v2, s60, v2                                  // 000000004C14: 6804043C
	v_add_u32_e32 v3, s60, v3                                  // 000000004C18: 6806063C
	v_add_u32_e32 v4, s60, v4                                  // 000000004C1C: 6808083C
	v_mov_b32_e32 v180, 0                                      // 000000004C20: 7F680280
	s_mov_b64 exec, s[90:91]                                   // 000000004C24: BEFE015A
	buffer_load_dword v180, v1, s[12:15], 0 idxen              // 000000004C28: E0502000 8003B401
	s_mov_b32 exec_lo, -1                                      // 000000004C30: BEFE00C1
	s_mov_b32 exec_hi, -1                                      // 000000004C34: BEFF00C1
	v_mov_b32_e32 v181, 0                                      // 000000004C38: 7F6A0280
	s_mov_b64 exec, s[90:91]                                   // 000000004C3C: BEFE015A
	buffer_load_dword v181, v2, s[12:15], 0 idxen              // 000000004C40: E0502000 8003B502
	s_mov_b32 exec_lo, -1                                      // 000000004C48: BEFE00C1
	s_mov_b32 exec_hi, -1                                      // 000000004C4C: BEFF00C1
	v_mov_b32_e32 v182, 0                                      // 000000004C50: 7F6C0280
	s_mov_b64 exec, s[90:91]                                   // 000000004C54: BEFE015A
	buffer_load_dword v182, v3, s[12:15], 0 idxen              // 000000004C58: E0502000 8003B603
	s_mov_b32 exec_lo, -1                                      // 000000004C60: BEFE00C1
	s_mov_b32 exec_hi, -1                                      // 000000004C64: BEFF00C1
	v_mov_b32_e32 v183, 0                                      // 000000004C68: 7F6E0280
	s_mov_b64 exec, s[90:91]                                   // 000000004C6C: BEFE015A
	buffer_load_dword v183, v4, s[12:15], 0 idxen              // 000000004C70: E0502000 8003B704
	s_mov_b32 exec_lo, -1                                      // 000000004C78: BEFE00C1
	s_mov_b32 exec_hi, -1                                      // 000000004C7C: BEFF00C1
	s_mul_i32 s60, 4, s6                                       // 000000004C80: 923C0684
	s_cmp_lt_i32 2, s72                                        // 000000004C84: BF044882
	s_cselect_b32 s60, s60, 0                                  // 000000004C88: 853C803C
	v_add_u32_e32 v1, s60, v1                                  // 000000004C8C: 6802023C
	v_add_u32_e32 v2, s60, v2                                  // 000000004C90: 6804043C
	v_add_u32_e32 v3, s60, v3                                  // 000000004C94: 6806063C
	v_add_u32_e32 v4, s60, v4                                  // 000000004C98: 6808083C
	v_mov_b32_e32 v184, 0                                      // 000000004C9C: 7F700280
	s_mov_b64 exec, s[90:91]                                   // 000000004CA0: BEFE015A
	buffer_load_dword v184, v1, s[12:15], 0 idxen              // 000000004CA4: E0502000 8003B801
	s_mov_b32 exec_lo, -1                                      // 000000004CAC: BEFE00C1
	s_mov_b32 exec_hi, -1                                      // 000000004CB0: BEFF00C1
	v_mov_b32_e32 v185, 0                                      // 000000004CB4: 7F720280
	s_mov_b64 exec, s[90:91]                                   // 000000004CB8: BEFE015A
	buffer_load_dword v185, v2, s[12:15], 0 idxen              // 000000004CBC: E0502000 8003B902
	s_mov_b32 exec_lo, -1                                      // 000000004CC4: BEFE00C1
	s_mov_b32 exec_hi, -1                                      // 000000004CC8: BEFF00C1
	v_mov_b32_e32 v186, 0                                      // 000000004CCC: 7F740280
	s_mov_b64 exec, s[90:91]                                   // 000000004CD0: BEFE015A
	buffer_load_dword v186, v3, s[12:15], 0 idxen              // 000000004CD4: E0502000 8003BA03
	s_mov_b32 exec_lo, -1                                      // 000000004CDC: BEFE00C1
	s_mov_b32 exec_hi, -1                                      // 000000004CE0: BEFF00C1
	v_mov_b32_e32 v187, 0                                      // 000000004CE4: 7F760280
	s_mov_b64 exec, s[90:91]                                   // 000000004CE8: BEFE015A
	buffer_load_dword v187, v4, s[12:15], 0 idxen              // 000000004CEC: E0502000 8003BB04
	s_mov_b32 exec_lo, -1                                      // 000000004CF4: BEFE00C1
	s_mov_b32 exec_hi, -1                                      // 000000004CF8: BEFF00C1
	s_mul_i32 s60, 4, s6                                       // 000000004CFC: 923C0684
	s_cmp_lt_i32 2, s72                                        // 000000004D00: BF044882
	s_cselect_b32 s60, s60, 0                                  // 000000004D04: 853C803C
	v_add_u32_e32 v1, s60, v1                                  // 000000004D08: 6802023C
	v_add_u32_e32 v2, s60, v2                                  // 000000004D0C: 6804043C
	v_add_u32_e32 v3, s60, v3                                  // 000000004D10: 6806063C
	v_add_u32_e32 v4, s60, v4                                  // 000000004D14: 6808083C
	v_mov_b32_e32 v188, 0                                      // 000000004D18: 7F780280
	s_mov_b64 exec, s[90:91]                                   // 000000004D1C: BEFE015A
	buffer_load_dword v188, v1, s[12:15], 0 idxen              // 000000004D20: E0502000 8003BC01
	s_mov_b32 exec_lo, -1                                      // 000000004D28: BEFE00C1
	s_mov_b32 exec_hi, -1                                      // 000000004D2C: BEFF00C1
	v_mov_b32_e32 v189, 0                                      // 000000004D30: 7F7A0280
	s_mov_b64 exec, s[90:91]                                   // 000000004D34: BEFE015A
	buffer_load_dword v189, v2, s[12:15], 0 idxen              // 000000004D38: E0502000 8003BD02
	s_mov_b32 exec_lo, -1                                      // 000000004D40: BEFE00C1
	s_mov_b32 exec_hi, -1                                      // 000000004D44: BEFF00C1
	v_mov_b32_e32 v190, 0                                      // 000000004D48: 7F7C0280
	s_mov_b64 exec, s[90:91]                                   // 000000004D4C: BEFE015A
	buffer_load_dword v190, v3, s[12:15], 0 idxen              // 000000004D50: E0502000 8003BE03
	s_mov_b32 exec_lo, -1                                      // 000000004D58: BEFE00C1
	s_mov_b32 exec_hi, -1                                      // 000000004D5C: BEFF00C1
	v_mov_b32_e32 v191, 0                                      // 000000004D60: 7F7E0280
	s_mov_b64 exec, s[90:91]                                   // 000000004D64: BEFE015A
	buffer_load_dword v191, v4, s[12:15], 0 idxen              // 000000004D68: E0502000 8003BF04
	s_mov_b32 exec_lo, -1                                      // 000000004D70: BEFE00C1
	s_mov_b32 exec_hi, -1                                      // 000000004D74: BEFF00C1
	s_mul_i32 s60, 4, s6                                       // 000000004D78: 923C0684
	s_cmp_lt_i32 2, s72                                        // 000000004D7C: BF044882
	s_cselect_b32 s60, s60, 0                                  // 000000004D80: 853C803C
	v_add_u32_e32 v1, s60, v1                                  // 000000004D84: 6802023C
	v_add_u32_e32 v2, s60, v2                                  // 000000004D88: 6804043C
	v_add_u32_e32 v3, s60, v3                                  // 000000004D8C: 6806063C
	v_add_u32_e32 v4, s60, v4                                  // 000000004D90: 6808083C
	v_mov_b32_e32 v192, 0                                      // 000000004D94: 7F800280
	s_mov_b64 exec, s[90:91]                                   // 000000004D98: BEFE015A
	buffer_load_dword v192, v1, s[12:15], 0 idxen              // 000000004D9C: E0502000 8003C001
	s_mov_b32 exec_lo, -1                                      // 000000004DA4: BEFE00C1
	s_mov_b32 exec_hi, -1                                      // 000000004DA8: BEFF00C1
	v_mov_b32_e32 v193, 0                                      // 000000004DAC: 7F820280
	s_mov_b64 exec, s[90:91]                                   // 000000004DB0: BEFE015A
	buffer_load_dword v193, v2, s[12:15], 0 idxen              // 000000004DB4: E0502000 8003C102
	s_mov_b32 exec_lo, -1                                      // 000000004DBC: BEFE00C1
	s_mov_b32 exec_hi, -1                                      // 000000004DC0: BEFF00C1
	v_mov_b32_e32 v194, 0                                      // 000000004DC4: 7F840280
	s_mov_b64 exec, s[90:91]                                   // 000000004DC8: BEFE015A
	buffer_load_dword v194, v3, s[12:15], 0 idxen              // 000000004DCC: E0502000 8003C203
	s_mov_b32 exec_lo, -1                                      // 000000004DD4: BEFE00C1
	s_mov_b32 exec_hi, -1                                      // 000000004DD8: BEFF00C1
	v_mov_b32_e32 v195, 0                                      // 000000004DDC: 7F860280
	s_mov_b64 exec, s[90:91]                                   // 000000004DE0: BEFE015A
	buffer_load_dword v195, v4, s[12:15], 0 idxen              // 000000004DE4: E0502000 8003C304
	s_mov_b32 exec_lo, -1                                      // 000000004DEC: BEFE00C1
	s_mov_b32 exec_hi, -1                                      // 000000004DF0: BEFF00C1
	s_mul_i32 s60, 4, s6                                       // 000000004DF4: 923C0684
	s_cmp_lt_i32 2, s72                                        // 000000004DF8: BF044882
	s_cselect_b32 s60, s60, 0                                  // 000000004DFC: 853C803C
	v_add_u32_e32 v1, s60, v1                                  // 000000004E00: 6802023C
	v_add_u32_e32 v2, s60, v2                                  // 000000004E04: 6804043C
	v_add_u32_e32 v3, s60, v3                                  // 000000004E08: 6806063C
	v_add_u32_e32 v4, s60, v4                                  // 000000004E0C: 6808083C
	v_mov_b32_e32 v196, 0                                      // 000000004E10: 7F880280
	s_mov_b64 exec, s[90:91]                                   // 000000004E14: BEFE015A
	buffer_load_dword v196, v1, s[12:15], 0 idxen              // 000000004E18: E0502000 8003C401
	s_mov_b32 exec_lo, -1                                      // 000000004E20: BEFE00C1
	s_mov_b32 exec_hi, -1                                      // 000000004E24: BEFF00C1
	v_mov_b32_e32 v197, 0                                      // 000000004E28: 7F8A0280
	s_mov_b64 exec, s[90:91]                                   // 000000004E2C: BEFE015A
	buffer_load_dword v197, v2, s[12:15], 0 idxen              // 000000004E30: E0502000 8003C502
	s_mov_b32 exec_lo, -1                                      // 000000004E38: BEFE00C1
	s_mov_b32 exec_hi, -1                                      // 000000004E3C: BEFF00C1
	v_mov_b32_e32 v198, 0                                      // 000000004E40: 7F8C0280
	s_mov_b64 exec, s[90:91]                                   // 000000004E44: BEFE015A
	buffer_load_dword v198, v3, s[12:15], 0 idxen              // 000000004E48: E0502000 8003C603
	s_mov_b32 exec_lo, -1                                      // 000000004E50: BEFE00C1
	s_mov_b32 exec_hi, -1                                      // 000000004E54: BEFF00C1
	v_mov_b32_e32 v199, 0                                      // 000000004E58: 7F8E0280
	s_mov_b64 exec, s[90:91]                                   // 000000004E5C: BEFE015A
	buffer_load_dword v199, v4, s[12:15], 0 idxen              // 000000004E60: E0502000 8003C704
	s_mov_b32 exec_lo, -1                                      // 000000004E68: BEFE00C1
	s_mov_b32 exec_hi, -1                                      // 000000004E6C: BEFF00C1
	s_mul_i32 s60, 4, s6                                       // 000000004E70: 923C0684
	s_cmp_lt_i32 3, s72                                        // 000000004E74: BF044883
	s_cselect_b32 s60, s60, 0                                  // 000000004E78: 853C803C
	v_add_u32_e32 v1, s60, v1                                  // 000000004E7C: 6802023C
	v_add_u32_e32 v2, s60, v2                                  // 000000004E80: 6804043C
	v_add_u32_e32 v3, s60, v3                                  // 000000004E84: 6806063C
	v_add_u32_e32 v4, s60, v4                                  // 000000004E88: 6808083C
	s_waitcnt vmcnt(32) lgkmcnt(0)                             // 000000004E8C: BF8C8070
	s_barrier                                                  // 000000004E90: BF8A0000
	s_cmp_lt_i32 0, s72                                        // 000000004E94: BF044880
	s_cbranch_scc1 label_0437                                  // 000000004E98: BF850010
	v_mov_b32_e32 v152, 0                                      // 000000004E9C: 7F300280
	v_mov_b32_e32 v153, 0                                      // 000000004EA0: 7F320280
	v_mov_b32_e32 v154, 0                                      // 000000004EA4: 7F340280
	v_mov_b32_e32 v155, 0                                      // 000000004EA8: 7F360280
	v_mov_b32_e32 v156, 0                                      // 000000004EAC: 7F380280
	v_mov_b32_e32 v157, 0                                      // 000000004EB0: 7F3A0280
	v_mov_b32_e32 v158, 0                                      // 000000004EB4: 7F3C0280
	v_mov_b32_e32 v159, 0                                      // 000000004EB8: 7F3E0280
	v_mov_b32_e32 v160, 0                                      // 000000004EBC: 7F400280
	v_mov_b32_e32 v161, 0                                      // 000000004EC0: 7F420280
	v_mov_b32_e32 v162, 0                                      // 000000004EC4: 7F440280
	v_mov_b32_e32 v163, 0                                      // 000000004EC8: 7F460280
	v_mov_b32_e32 v164, 0                                      // 000000004ECC: 7F480280
	v_mov_b32_e32 v165, 0                                      // 000000004ED0: 7F4A0280
	v_mov_b32_e32 v166, 0                                      // 000000004ED4: 7F4C0280
	v_mov_b32_e32 v167, 0                                      // 000000004ED8: 7F4E0280

0000000000004edc <label_0437>:
	v_perm_b32 v200, v153, v152, s63                           // 000000004EDC: D1ED00C8 00FF3199
	v_perm_b32 v201, v153, v152, s64                           // 000000004EE4: D1ED00C9 01033199
	v_perm_b32 v202, v155, v154, s63                           // 000000004EEC: D1ED00CA 00FF359B
	v_perm_b32 v203, v155, v154, s64                           // 000000004EF4: D1ED00CB 0103359B
	v_perm_b32 v204, v157, v156, s63                           // 000000004EFC: D1ED00CC 00FF399D
	v_perm_b32 v205, v157, v156, s64                           // 000000004F04: D1ED00CD 0103399D
	v_perm_b32 v206, v159, v158, s63                           // 000000004F0C: D1ED00CE 00FF3D9F
	v_perm_b32 v207, v159, v158, s64                           // 000000004F14: D1ED00CF 01033D9F
	v_perm_b32 v208, v161, v160, s63                           // 000000004F1C: D1ED00D0 00FF41A1
	v_perm_b32 v209, v161, v160, s64                           // 000000004F24: D1ED00D1 010341A1
	v_perm_b32 v210, v163, v162, s63                           // 000000004F2C: D1ED00D2 00FF45A3
	v_perm_b32 v211, v163, v162, s64                           // 000000004F34: D1ED00D3 010345A3
	v_perm_b32 v212, v165, v164, s63                           // 000000004F3C: D1ED00D4 00FF49A5
	v_perm_b32 v213, v165, v164, s64                           // 000000004F44: D1ED00D5 010349A5
	v_perm_b32 v214, v167, v166, s63                           // 000000004F4C: D1ED00D6 00FF4DA7
	v_perm_b32 v215, v167, v166, s64                           // 000000004F54: D1ED00D7 01034DA7
	ds_write_b32 v13, v200 offset:17408                        // 000000004F5C: D81A4400 0000C80D
	ds_write_b32 v13, v201 offset:18464                        // 000000004F64: D81A4820 0000C90D
	ds_write_b32 v13, v202 offset:17536                        // 000000004F6C: D81A4480 0000CA0D
	ds_write_b32 v13, v203 offset:18592                        // 000000004F74: D81A48A0 0000CB0D
	ds_write_b32 v13, v204 offset:21760                        // 000000004F7C: D81A5500 0000CC0D
	ds_write_b32 v13, v205 offset:22816                        // 000000004F84: D81A5920 0000CD0D
	ds_write_b32 v13, v206 offset:21888                        // 000000004F8C: D81A5580 0000CE0D
	ds_write_b32 v13, v207 offset:22944                        // 000000004F94: D81A59A0 0000CF0D
	ds_write_b32 v13, v208 offset:26112                        // 000000004F9C: D81A6600 0000D00D
	ds_write_b32 v13, v209 offset:27168                        // 000000004FA4: D81A6A20 0000D10D
	ds_write_b32 v13, v210 offset:26240                        // 000000004FAC: D81A6680 0000D20D
	ds_write_b32 v13, v211 offset:27296                        // 000000004FB4: D81A6AA0 0000D30D
	ds_write_b32 v13, v212 offset:30464                        // 000000004FBC: D81A7700 0000D40D
	ds_write_b32 v13, v213 offset:31520                        // 000000004FC4: D81A7B20 0000D50D
	ds_write_b32 v13, v214 offset:30592                        // 000000004FCC: D81A7780 0000D60D
	ds_write_b32 v13, v215 offset:31648                        // 000000004FD4: D81A7BA0 0000D70D
	ds_write_b32 v11, v152                                     // 000000004FDC: D81A0000 0000980B
	ds_write_b32 v11, v153 offset:1056                         // 000000004FE4: D81A0420 0000990B
	ds_write_b32 v11, v154 offset:128                          // 000000004FEC: D81A0080 00009A0B
	ds_write_b32 v11, v155 offset:1184                         // 000000004FF4: D81A04A0 00009B0B
	ds_write_b32 v11, v156 offset:4352                         // 000000004FFC: D81A1100 00009C0B
	ds_write_b32 v11, v157 offset:5408                         // 000000005004: D81A1520 00009D0B
	ds_write_b32 v11, v158 offset:4480                         // 00000000500C: D81A1180 00009E0B
	ds_write_b32 v11, v159 offset:5536                         // 000000005014: D81A15A0 00009F0B
	ds_write_b32 v11, v160 offset:8704                         // 00000000501C: D81A2200 0000A00B
	ds_write_b32 v11, v161 offset:9760                         // 000000005024: D81A2620 0000A10B
	ds_write_b32 v11, v162 offset:8832                         // 00000000502C: D81A2280 0000A20B
	ds_write_b32 v11, v163 offset:9888                         // 000000005034: D81A26A0 0000A30B
	ds_write_b32 v11, v164 offset:13056                        // 00000000503C: D81A3300 0000A40B
	ds_write_b32 v11, v165 offset:14112                        // 000000005044: D81A3720 0000A50B
	ds_write_b32 v11, v166 offset:13184                        // 00000000504C: D81A3380 0000A60B
	ds_write_b32 v11, v167 offset:14240                        // 000000005054: D81A37A0 0000A70B
	v_mov_b32_e32 v152, 0                                      // 00000000505C: 7F300280
	s_mov_b64 exec, s[90:91]                                   // 000000005060: BEFE015A
	buffer_load_dword v152, v252, s[16:19], 0 idxen            // 000000005064: E0502000 800498FC
	s_mov_b32 exec_lo, -1                                      // 00000000506C: BEFE00C1
	s_mov_b32 exec_hi, -1                                      // 000000005070: BEFF00C1
	v_mov_b32_e32 v153, 0                                      // 000000005074: 7F320280
	s_mov_b64 exec, s[90:91]                                   // 000000005078: BEFE015A
	buffer_load_dword v153, v253, s[16:19], 0 idxen            // 00000000507C: E0502000 800499FD
	s_mov_b32 exec_lo, -1                                      // 000000005084: BEFE00C1
	s_mov_b32 exec_hi, -1                                      // 000000005088: BEFF00C1
	v_mov_b32_e32 v154, 0                                      // 00000000508C: 7F340280
	s_mov_b64 exec, s[90:91]                                   // 000000005090: BEFE015A
	buffer_load_dword v154, v254, s[16:19], 0 idxen            // 000000005094: E0502000 80049AFE
	s_mov_b32 exec_lo, -1                                      // 00000000509C: BEFE00C1
	s_mov_b32 exec_hi, -1                                      // 0000000050A0: BEFF00C1
	v_mov_b32_e32 v155, 0                                      // 0000000050A4: 7F360280
	s_mov_b64 exec, s[90:91]                                   // 0000000050A8: BEFE015A
	buffer_load_dword v155, v255, s[16:19], 0 idxen            // 0000000050AC: E0502000 80049BFF
	s_mov_b32 exec_lo, -1                                      // 0000000050B4: BEFE00C1
	s_mov_b32 exec_hi, -1                                      // 0000000050B8: BEFF00C1
	s_mul_i32 s60, 4, s7                                       // 0000000050BC: 923C0784
	s_cmp_lt_i32 0, s72                                        // 0000000050C0: BF044880
	s_cselect_b32 s60, s60, 0                                  // 0000000050C4: 853C803C
	v_add_u32_e32 v252, s60, v252                              // 0000000050C8: 69F9F83C
	v_add_u32_e32 v253, s60, v253                              // 0000000050CC: 69FBFA3C
	v_add_u32_e32 v254, s60, v254                              // 0000000050D0: 69FDFC3C
	v_add_u32_e32 v255, s60, v255                              // 0000000050D4: 69FFFE3C
	v_mov_b32_e32 v156, 0                                      // 0000000050D8: 7F380280
	s_mov_b64 exec, s[90:91]                                   // 0000000050DC: BEFE015A
	buffer_load_dword v156, v252, s[16:19], 0 idxen            // 0000000050E0: E0502000 80049CFC
	s_mov_b32 exec_lo, -1                                      // 0000000050E8: BEFE00C1
	s_mov_b32 exec_hi, -1                                      // 0000000050EC: BEFF00C1
	v_mov_b32_e32 v157, 0                                      // 0000000050F0: 7F3A0280
	s_mov_b64 exec, s[90:91]                                   // 0000000050F4: BEFE015A
	buffer_load_dword v157, v253, s[16:19], 0 idxen            // 0000000050F8: E0502000 80049DFD
	s_mov_b32 exec_lo, -1                                      // 000000005100: BEFE00C1
	s_mov_b32 exec_hi, -1                                      // 000000005104: BEFF00C1
	v_mov_b32_e32 v158, 0                                      // 000000005108: 7F3C0280
	s_mov_b64 exec, s[90:91]                                   // 00000000510C: BEFE015A
	buffer_load_dword v158, v254, s[16:19], 0 idxen            // 000000005110: E0502000 80049EFE
	s_mov_b32 exec_lo, -1                                      // 000000005118: BEFE00C1
	s_mov_b32 exec_hi, -1                                      // 00000000511C: BEFF00C1
	v_mov_b32_e32 v159, 0                                      // 000000005120: 7F3E0280
	s_mov_b64 exec, s[90:91]                                   // 000000005124: BEFE015A
	buffer_load_dword v159, v255, s[16:19], 0 idxen            // 000000005128: E0502000 80049FFF
	s_mov_b32 exec_lo, -1                                      // 000000005130: BEFE00C1
	s_mov_b32 exec_hi, -1                                      // 000000005134: BEFF00C1
	s_mul_i32 s60, 4, s7                                       // 000000005138: 923C0784
	s_cmp_lt_i32 0, s72                                        // 00000000513C: BF044880
	s_cselect_b32 s60, s60, 0                                  // 000000005140: 853C803C
	v_add_u32_e32 v252, s60, v252                              // 000000005144: 69F9F83C
	v_add_u32_e32 v253, s60, v253                              // 000000005148: 69FBFA3C
	v_add_u32_e32 v254, s60, v254                              // 00000000514C: 69FDFC3C
	v_add_u32_e32 v255, s60, v255                              // 000000005150: 69FFFE3C
	v_mov_b32_e32 v160, 0                                      // 000000005154: 7F400280
	s_mov_b64 exec, s[90:91]                                   // 000000005158: BEFE015A
	buffer_load_dword v160, v252, s[16:19], 0 idxen            // 00000000515C: E0502000 8004A0FC
	s_mov_b32 exec_lo, -1                                      // 000000005164: BEFE00C1
	s_mov_b32 exec_hi, -1                                      // 000000005168: BEFF00C1
	v_mov_b32_e32 v161, 0                                      // 00000000516C: 7F420280
	s_mov_b64 exec, s[90:91]                                   // 000000005170: BEFE015A
	buffer_load_dword v161, v253, s[16:19], 0 idxen            // 000000005174: E0502000 8004A1FD
	s_mov_b32 exec_lo, -1                                      // 00000000517C: BEFE00C1
	s_mov_b32 exec_hi, -1                                      // 000000005180: BEFF00C1
	v_mov_b32_e32 v162, 0                                      // 000000005184: 7F440280
	s_mov_b64 exec, s[90:91]                                   // 000000005188: BEFE015A
	buffer_load_dword v162, v254, s[16:19], 0 idxen            // 00000000518C: E0502000 8004A2FE
	s_mov_b32 exec_lo, -1                                      // 000000005194: BEFE00C1
	s_mov_b32 exec_hi, -1                                      // 000000005198: BEFF00C1
	v_mov_b32_e32 v163, 0                                      // 00000000519C: 7F460280
	s_mov_b64 exec, s[90:91]                                   // 0000000051A0: BEFE015A
	buffer_load_dword v163, v255, s[16:19], 0 idxen            // 0000000051A4: E0502000 8004A3FF
	s_mov_b32 exec_lo, -1                                      // 0000000051AC: BEFE00C1
	s_mov_b32 exec_hi, -1                                      // 0000000051B0: BEFF00C1
	s_mul_i32 s60, 4, s7                                       // 0000000051B4: 923C0784
	s_cmp_lt_i32 0, s72                                        // 0000000051B8: BF044880
	s_cselect_b32 s60, s60, 0                                  // 0000000051BC: 853C803C
	v_add_u32_e32 v252, s60, v252                              // 0000000051C0: 69F9F83C
	v_add_u32_e32 v253, s60, v253                              // 0000000051C4: 69FBFA3C
	v_add_u32_e32 v254, s60, v254                              // 0000000051C8: 69FDFC3C
	v_add_u32_e32 v255, s60, v255                              // 0000000051CC: 69FFFE3C
	v_mov_b32_e32 v164, 0                                      // 0000000051D0: 7F480280
	s_mov_b64 exec, s[90:91]                                   // 0000000051D4: BEFE015A
	buffer_load_dword v164, v252, s[16:19], 0 idxen            // 0000000051D8: E0502000 8004A4FC
	s_mov_b32 exec_lo, -1                                      // 0000000051E0: BEFE00C1
	s_mov_b32 exec_hi, -1                                      // 0000000051E4: BEFF00C1
	v_mov_b32_e32 v165, 0                                      // 0000000051E8: 7F4A0280
	s_mov_b64 exec, s[90:91]                                   // 0000000051EC: BEFE015A
	buffer_load_dword v165, v253, s[16:19], 0 idxen            // 0000000051F0: E0502000 8004A5FD
	s_mov_b32 exec_lo, -1                                      // 0000000051F8: BEFE00C1
	s_mov_b32 exec_hi, -1                                      // 0000000051FC: BEFF00C1
	v_mov_b32_e32 v166, 0                                      // 000000005200: 7F4C0280
	s_mov_b64 exec, s[90:91]                                   // 000000005204: BEFE015A
	buffer_load_dword v166, v254, s[16:19], 0 idxen            // 000000005208: E0502000 8004A6FE
	s_mov_b32 exec_lo, -1                                      // 000000005210: BEFE00C1
	s_mov_b32 exec_hi, -1                                      // 000000005214: BEFF00C1
	v_mov_b32_e32 v167, 0                                      // 000000005218: 7F4E0280
	s_mov_b64 exec, s[90:91]                                   // 00000000521C: BEFE015A
	buffer_load_dword v167, v255, s[16:19], 0 idxen            // 000000005220: E0502000 8004A7FF
	s_mov_b32 exec_lo, -1                                      // 000000005228: BEFE00C1
	s_mov_b32 exec_hi, -1                                      // 00000000522C: BEFF00C1
	s_mul_i32 s60, 4, s7                                       // 000000005230: 923C0784
	s_cmp_lt_i32 1, s72                                        // 000000005234: BF044881
	s_cselect_b32 s60, s60, 0                                  // 000000005238: 853C803C
	v_add_u32_e32 v252, s60, v252                              // 00000000523C: 69F9F83C
	v_add_u32_e32 v253, s60, v253                              // 000000005240: 69FBFA3C
	v_add_u32_e32 v254, s60, v254                              // 000000005244: 69FDFC3C
	v_add_u32_e32 v255, s60, v255                              // 000000005248: 69FFFE3C
	s_waitcnt lgkmcnt(0)                                       // 00000000524C: BF8CC07F
	s_barrier                                                  // 000000005250: BF8A0000
	ds_read_b128 a[48:51], v23 offset:17408                    // 000000005254: DBFE4400 30000017
	ds_read_b128 a[52:55], v23 offset:17664                    // 00000000525C: DBFE4500 34000017
	ds_read_b128 a[56:59], v23 offset:26112                    // 000000005264: DBFE6600 38000017
	ds_read_b128 a[60:63], v23 offset:26368                    // 00000000526C: DBFE6700 3C000017
	ds_read_b128 a[0:3], v22                                   // 000000005274: DBFE0000 00000016
	ds_read_b128 a[4:7], v22 offset:512                        // 00000000527C: DBFE0200 04000016
	ds_read_b128 a[8:11], v22 offset:2176                      // 000000005284: DBFE0880 08000016
	ds_read_b128 a[12:15], v22 offset:2688                     // 00000000528C: DBFE0A80 0C000016
	s_waitcnt vmcnt(32) lgkmcnt(0)                             // 000000005294: BF8C8070
	s_barrier                                                  // 000000005298: BF8A0000
	s_cmp_lt_i32 1, s72                                        // 00000000529C: BF044881
	s_cbranch_scc1 label_0539                                  // 0000000052A0: BF850010
	v_mov_b32_e32 v168, 0                                      // 0000000052A4: 7F500280
	v_mov_b32_e32 v169, 0                                      // 0000000052A8: 7F520280
	v_mov_b32_e32 v170, 0                                      // 0000000052AC: 7F540280
	v_mov_b32_e32 v171, 0                                      // 0000000052B0: 7F560280
	v_mov_b32_e32 v172, 0                                      // 0000000052B4: 7F580280
	v_mov_b32_e32 v173, 0                                      // 0000000052B8: 7F5A0280
	v_mov_b32_e32 v174, 0                                      // 0000000052BC: 7F5C0280
	v_mov_b32_e32 v175, 0                                      // 0000000052C0: 7F5E0280
	v_mov_b32_e32 v176, 0                                      // 0000000052C4: 7F600280
	v_mov_b32_e32 v177, 0                                      // 0000000052C8: 7F620280
	v_mov_b32_e32 v178, 0                                      // 0000000052CC: 7F640280
	v_mov_b32_e32 v179, 0                                      // 0000000052D0: 7F660280
	v_mov_b32_e32 v180, 0                                      // 0000000052D4: 7F680280
	v_mov_b32_e32 v181, 0                                      // 0000000052D8: 7F6A0280
	v_mov_b32_e32 v182, 0                                      // 0000000052DC: 7F6C0280
	v_mov_b32_e32 v183, 0                                      // 0000000052E0: 7F6E0280

00000000000052e4 <label_0539>:
	v_perm_b32 v200, v169, v168, s63                           // 0000000052E4: D1ED00C8 00FF51A9
	v_perm_b32 v201, v169, v168, s64                           // 0000000052EC: D1ED00C9 010351A9
	v_perm_b32 v202, v171, v170, s63                           // 0000000052F4: D1ED00CA 00FF55AB
	v_perm_b32 v203, v171, v170, s64                           // 0000000052FC: D1ED00CB 010355AB
	v_perm_b32 v204, v173, v172, s63                           // 000000005304: D1ED00CC 00FF59AD
	v_perm_b32 v205, v173, v172, s64                           // 00000000530C: D1ED00CD 010359AD
	v_perm_b32 v206, v175, v174, s63                           // 000000005314: D1ED00CE 00FF5DAF
	v_perm_b32 v207, v175, v174, s64                           // 00000000531C: D1ED00CF 01035DAF
	v_perm_b32 v208, v177, v176, s63                           // 000000005324: D1ED00D0 00FF61B1
	v_perm_b32 v209, v177, v176, s64                           // 00000000532C: D1ED00D1 010361B1
	v_perm_b32 v210, v179, v178, s63                           // 000000005334: D1ED00D2 00FF65B3
	v_perm_b32 v211, v179, v178, s64                           // 00000000533C: D1ED00D3 010365B3
	v_perm_b32 v212, v181, v180, s63                           // 000000005344: D1ED00D4 00FF69B5
	v_perm_b32 v213, v181, v180, s64                           // 00000000534C: D1ED00D5 010369B5
	v_perm_b32 v214, v183, v182, s63                           // 000000005354: D1ED00D6 00FF6DB7
	v_perm_b32 v215, v183, v182, s64                           // 00000000535C: D1ED00D7 01036DB7
	ds_write_b32 v13, v200 offset:17408                        // 000000005364: D81A4400 0000C80D
	ds_write_b32 v13, v201 offset:18464                        // 00000000536C: D81A4820 0000C90D
	ds_write_b32 v13, v202 offset:17536                        // 000000005374: D81A4480 0000CA0D
	ds_write_b32 v13, v203 offset:18592                        // 00000000537C: D81A48A0 0000CB0D
	ds_write_b32 v13, v204 offset:21760                        // 000000005384: D81A5500 0000CC0D
	ds_write_b32 v13, v205 offset:22816                        // 00000000538C: D81A5920 0000CD0D
	ds_write_b32 v13, v206 offset:21888                        // 000000005394: D81A5580 0000CE0D
	ds_write_b32 v13, v207 offset:22944                        // 00000000539C: D81A59A0 0000CF0D
	ds_write_b32 v13, v208 offset:26112                        // 0000000053A4: D81A6600 0000D00D
	ds_write_b32 v13, v209 offset:27168                        // 0000000053AC: D81A6A20 0000D10D
	ds_write_b32 v13, v210 offset:26240                        // 0000000053B4: D81A6680 0000D20D
	ds_write_b32 v13, v211 offset:27296                        // 0000000053BC: D81A6AA0 0000D30D
	ds_write_b32 v13, v212 offset:30464                        // 0000000053C4: D81A7700 0000D40D
	ds_write_b32 v13, v213 offset:31520                        // 0000000053CC: D81A7B20 0000D50D
	ds_write_b32 v13, v214 offset:30592                        // 0000000053D4: D81A7780 0000D60D
	ds_write_b32 v13, v215 offset:31648                        // 0000000053DC: D81A7BA0 0000D70D
	ds_write_b32 v11, v168                                     // 0000000053E4: D81A0000 0000A80B
	ds_write_b32 v11, v169 offset:1056                         // 0000000053EC: D81A0420 0000A90B
	ds_write_b32 v11, v170 offset:128                          // 0000000053F4: D81A0080 0000AA0B
	ds_write_b32 v11, v171 offset:1184                         // 0000000053FC: D81A04A0 0000AB0B
	ds_write_b32 v11, v172 offset:4352                         // 000000005404: D81A1100 0000AC0B
	ds_write_b32 v11, v173 offset:5408                         // 00000000540C: D81A1520 0000AD0B
	ds_write_b32 v11, v174 offset:4480                         // 000000005414: D81A1180 0000AE0B
	ds_write_b32 v11, v175 offset:5536                         // 00000000541C: D81A15A0 0000AF0B
	ds_write_b32 v11, v176 offset:8704                         // 000000005424: D81A2200 0000B00B
	ds_write_b32 v11, v177 offset:9760                         // 00000000542C: D81A2620 0000B10B
	ds_write_b32 v11, v178 offset:8832                         // 000000005434: D81A2280 0000B20B
	ds_write_b32 v11, v179 offset:9888                         // 00000000543C: D81A26A0 0000B30B
	ds_write_b32 v11, v180 offset:13056                        // 000000005444: D81A3300 0000B40B
	ds_write_b32 v11, v181 offset:14112                        // 00000000544C: D81A3720 0000B50B
	ds_write_b32 v11, v182 offset:13184                        // 000000005454: D81A3380 0000B60B
	ds_write_b32 v11, v183 offset:14240                        // 00000000545C: D81A37A0 0000B70B
	v_mov_b32_e32 v168, 0                                      // 000000005464: 7F500280
	s_mov_b64 exec, s[90:91]                                   // 000000005468: BEFE015A
	buffer_load_dword v168, v252, s[16:19], 0 idxen            // 00000000546C: E0502000 8004A8FC
	s_mov_b32 exec_lo, -1                                      // 000000005474: BEFE00C1
	s_mov_b32 exec_hi, -1                                      // 000000005478: BEFF00C1
	v_mov_b32_e32 v169, 0                                      // 00000000547C: 7F520280
	s_mov_b64 exec, s[90:91]                                   // 000000005480: BEFE015A
	buffer_load_dword v169, v253, s[16:19], 0 idxen            // 000000005484: E0502000 8004A9FD
	s_mov_b32 exec_lo, -1                                      // 00000000548C: BEFE00C1
	s_mov_b32 exec_hi, -1                                      // 000000005490: BEFF00C1
	v_mov_b32_e32 v170, 0                                      // 000000005494: 7F540280
	s_mov_b64 exec, s[90:91]                                   // 000000005498: BEFE015A
	buffer_load_dword v170, v254, s[16:19], 0 idxen            // 00000000549C: E0502000 8004AAFE
	s_mov_b32 exec_lo, -1                                      // 0000000054A4: BEFE00C1
	s_mov_b32 exec_hi, -1                                      // 0000000054A8: BEFF00C1
	v_mov_b32_e32 v171, 0                                      // 0000000054AC: 7F560280
	s_mov_b64 exec, s[90:91]                                   // 0000000054B0: BEFE015A
	buffer_load_dword v171, v255, s[16:19], 0 idxen            // 0000000054B4: E0502000 8004ABFF
	s_mov_b32 exec_lo, -1                                      // 0000000054BC: BEFE00C1
	s_mov_b32 exec_hi, -1                                      // 0000000054C0: BEFF00C1
	s_mul_i32 s60, 4, s7                                       // 0000000054C4: 923C0784
	s_cmp_lt_i32 1, s72                                        // 0000000054C8: BF044881
	s_cselect_b32 s60, s60, 0                                  // 0000000054CC: 853C803C
	v_add_u32_e32 v252, s60, v252                              // 0000000054D0: 69F9F83C
	v_add_u32_e32 v253, s60, v253                              // 0000000054D4: 69FBFA3C
	v_add_u32_e32 v254, s60, v254                              // 0000000054D8: 69FDFC3C
	v_add_u32_e32 v255, s60, v255                              // 0000000054DC: 69FFFE3C
	v_mov_b32_e32 v172, 0                                      // 0000000054E0: 7F580280
	s_mov_b64 exec, s[90:91]                                   // 0000000054E4: BEFE015A
	buffer_load_dword v172, v252, s[16:19], 0 idxen            // 0000000054E8: E0502000 8004ACFC
	s_mov_b32 exec_lo, -1                                      // 0000000054F0: BEFE00C1
	s_mov_b32 exec_hi, -1                                      // 0000000054F4: BEFF00C1
	v_mov_b32_e32 v173, 0                                      // 0000000054F8: 7F5A0280
	s_mov_b64 exec, s[90:91]                                   // 0000000054FC: BEFE015A
	buffer_load_dword v173, v253, s[16:19], 0 idxen            // 000000005500: E0502000 8004ADFD
	s_mov_b32 exec_lo, -1                                      // 000000005508: BEFE00C1
	s_mov_b32 exec_hi, -1                                      // 00000000550C: BEFF00C1
	v_mov_b32_e32 v174, 0                                      // 000000005510: 7F5C0280
	s_mov_b64 exec, s[90:91]                                   // 000000005514: BEFE015A
	buffer_load_dword v174, v254, s[16:19], 0 idxen            // 000000005518: E0502000 8004AEFE
	s_mov_b32 exec_lo, -1                                      // 000000005520: BEFE00C1
	s_mov_b32 exec_hi, -1                                      // 000000005524: BEFF00C1
	v_mov_b32_e32 v175, 0                                      // 000000005528: 7F5E0280
	s_mov_b64 exec, s[90:91]                                   // 00000000552C: BEFE015A
	buffer_load_dword v175, v255, s[16:19], 0 idxen            // 000000005530: E0502000 8004AFFF
	s_mov_b32 exec_lo, -1                                      // 000000005538: BEFE00C1
	s_mov_b32 exec_hi, -1                                      // 00000000553C: BEFF00C1
	s_mul_i32 s60, 4, s7                                       // 000000005540: 923C0784
	s_cmp_lt_i32 1, s72                                        // 000000005544: BF044881
	s_cselect_b32 s60, s60, 0                                  // 000000005548: 853C803C
	v_add_u32_e32 v252, s60, v252                              // 00000000554C: 69F9F83C
	v_add_u32_e32 v253, s60, v253                              // 000000005550: 69FBFA3C
	v_add_u32_e32 v254, s60, v254                              // 000000005554: 69FDFC3C
	v_add_u32_e32 v255, s60, v255                              // 000000005558: 69FFFE3C
	v_mov_b32_e32 v176, 0                                      // 00000000555C: 7F600280
	s_mov_b64 exec, s[90:91]                                   // 000000005560: BEFE015A
	buffer_load_dword v176, v252, s[16:19], 0 idxen            // 000000005564: E0502000 8004B0FC
	s_mov_b32 exec_lo, -1                                      // 00000000556C: BEFE00C1
	s_mov_b32 exec_hi, -1                                      // 000000005570: BEFF00C1
	v_mov_b32_e32 v177, 0                                      // 000000005574: 7F620280
	s_mov_b64 exec, s[90:91]                                   // 000000005578: BEFE015A
	buffer_load_dword v177, v253, s[16:19], 0 idxen            // 00000000557C: E0502000 8004B1FD
	s_mov_b32 exec_lo, -1                                      // 000000005584: BEFE00C1
	s_mov_b32 exec_hi, -1                                      // 000000005588: BEFF00C1
	v_mov_b32_e32 v178, 0                                      // 00000000558C: 7F640280
	s_mov_b64 exec, s[90:91]                                   // 000000005590: BEFE015A
	buffer_load_dword v178, v254, s[16:19], 0 idxen            // 000000005594: E0502000 8004B2FE
	s_mov_b32 exec_lo, -1                                      // 00000000559C: BEFE00C1
	s_mov_b32 exec_hi, -1                                      // 0000000055A0: BEFF00C1
	v_mov_b32_e32 v179, 0                                      // 0000000055A4: 7F660280
	s_mov_b64 exec, s[90:91]                                   // 0000000055A8: BEFE015A
	buffer_load_dword v179, v255, s[16:19], 0 idxen            // 0000000055AC: E0502000 8004B3FF
	s_mov_b32 exec_lo, -1                                      // 0000000055B4: BEFE00C1
	s_mov_b32 exec_hi, -1                                      // 0000000055B8: BEFF00C1
	s_mul_i32 s60, 4, s7                                       // 0000000055BC: 923C0784
	s_cmp_lt_i32 1, s72                                        // 0000000055C0: BF044881
	s_cselect_b32 s60, s60, 0                                  // 0000000055C4: 853C803C
	v_add_u32_e32 v252, s60, v252                              // 0000000055C8: 69F9F83C
	v_add_u32_e32 v253, s60, v253                              // 0000000055CC: 69FBFA3C
	v_add_u32_e32 v254, s60, v254                              // 0000000055D0: 69FDFC3C
	v_add_u32_e32 v255, s60, v255                              // 0000000055D4: 69FFFE3C
	v_mov_b32_e32 v180, 0                                      // 0000000055D8: 7F680280
	s_mov_b64 exec, s[90:91]                                   // 0000000055DC: BEFE015A
	buffer_load_dword v180, v252, s[16:19], 0 idxen            // 0000000055E0: E0502000 8004B4FC
	s_mov_b32 exec_lo, -1                                      // 0000000055E8: BEFE00C1
	s_mov_b32 exec_hi, -1                                      // 0000000055EC: BEFF00C1
	v_mov_b32_e32 v181, 0                                      // 0000000055F0: 7F6A0280
	s_mov_b64 exec, s[90:91]                                   // 0000000055F4: BEFE015A
	buffer_load_dword v181, v253, s[16:19], 0 idxen            // 0000000055F8: E0502000 8004B5FD
	s_mov_b32 exec_lo, -1                                      // 000000005600: BEFE00C1
	s_mov_b32 exec_hi, -1                                      // 000000005604: BEFF00C1
	v_mov_b32_e32 v182, 0                                      // 000000005608: 7F6C0280
	s_mov_b64 exec, s[90:91]                                   // 00000000560C: BEFE015A
	buffer_load_dword v182, v254, s[16:19], 0 idxen            // 000000005610: E0502000 8004B6FE
	s_mov_b32 exec_lo, -1                                      // 000000005618: BEFE00C1
	s_mov_b32 exec_hi, -1                                      // 00000000561C: BEFF00C1
	v_mov_b32_e32 v183, 0                                      // 000000005620: 7F6E0280
	s_mov_b64 exec, s[90:91]                                   // 000000005624: BEFE015A
	buffer_load_dword v183, v255, s[16:19], 0 idxen            // 000000005628: E0502000 8004B7FF
	s_mov_b32 exec_lo, -1                                      // 000000005630: BEFE00C1
	s_mov_b32 exec_hi, -1                                      // 000000005634: BEFF00C1
	s_mul_i32 s60, 4, s7                                       // 000000005638: 923C0784
	s_cmp_lt_i32 2, s72                                        // 00000000563C: BF044882
	s_cselect_b32 s60, s60, 0                                  // 000000005640: 853C803C
	v_add_u32_e32 v252, s60, v252                              // 000000005644: 69F9F83C
	v_add_u32_e32 v253, s60, v253                              // 000000005648: 69FBFA3C
	v_add_u32_e32 v254, s60, v254                              // 00000000564C: 69FDFC3C
	v_add_u32_e32 v255, s60, v255                              // 000000005650: 69FFFE3C
	s_waitcnt lgkmcnt(0)                                       // 000000005654: BF8CC07F
	s_barrier                                                  // 000000005658: BF8A0000
	ds_read_b128 a[64:67], v23 offset:17408                    // 00000000565C: DBFE4400 40000017
	ds_read_b128 a[68:71], v23 offset:17664                    // 000000005664: DBFE4500 44000017
	ds_read_b128 a[72:75], v23 offset:26112                    // 00000000566C: DBFE6600 48000017
	ds_read_b128 a[76:79], v23 offset:26368                    // 000000005674: DBFE6700 4C000017
	ds_read_b128 a[16:19], v22                                 // 00000000567C: DBFE0000 10000016
	ds_read_b128 a[20:23], v22 offset:512                      // 000000005684: DBFE0200 14000016
	ds_read_b128 a[24:27], v22 offset:2176                     // 00000000568C: DBFE0880 18000016
	ds_read_b128 a[28:31], v22 offset:2688                     // 000000005694: DBFE0A80 1C000016
	s_waitcnt vmcnt(32) lgkmcnt(0)                             // 00000000569C: BF8C8070
	s_barrier                                                  // 0000000056A0: BF8A0000
	s_cmp_lt_i32 2, s72                                        // 0000000056A4: BF044882
	s_cbranch_scc1 label_063B                                  // 0000000056A8: BF850010
	v_mov_b32_e32 v184, 0                                      // 0000000056AC: 7F700280
	v_mov_b32_e32 v185, 0                                      // 0000000056B0: 7F720280
	v_mov_b32_e32 v186, 0                                      // 0000000056B4: 7F740280
	v_mov_b32_e32 v187, 0                                      // 0000000056B8: 7F760280
	v_mov_b32_e32 v188, 0                                      // 0000000056BC: 7F780280
	v_mov_b32_e32 v189, 0                                      // 0000000056C0: 7F7A0280
	v_mov_b32_e32 v190, 0                                      // 0000000056C4: 7F7C0280
	v_mov_b32_e32 v191, 0                                      // 0000000056C8: 7F7E0280
	v_mov_b32_e32 v192, 0                                      // 0000000056CC: 7F800280
	v_mov_b32_e32 v193, 0                                      // 0000000056D0: 7F820280
	v_mov_b32_e32 v194, 0                                      // 0000000056D4: 7F840280
	v_mov_b32_e32 v195, 0                                      // 0000000056D8: 7F860280
	v_mov_b32_e32 v196, 0                                      // 0000000056DC: 7F880280
	v_mov_b32_e32 v197, 0                                      // 0000000056E0: 7F8A0280
	v_mov_b32_e32 v198, 0                                      // 0000000056E4: 7F8C0280
	v_mov_b32_e32 v199, 0                                      // 0000000056E8: 7F8E0280

00000000000056ec <label_063B>:
	v_perm_b32 v200, v185, v184, s63                           // 0000000056EC: D1ED00C8 00FF71B9
	v_perm_b32 v201, v185, v184, s64                           // 0000000056F4: D1ED00C9 010371B9
	v_perm_b32 v202, v187, v186, s63                           // 0000000056FC: D1ED00CA 00FF75BB
	v_perm_b32 v203, v187, v186, s64                           // 000000005704: D1ED00CB 010375BB
	v_perm_b32 v204, v189, v188, s63                           // 00000000570C: D1ED00CC 00FF79BD
	v_perm_b32 v205, v189, v188, s64                           // 000000005714: D1ED00CD 010379BD
	v_perm_b32 v206, v191, v190, s63                           // 00000000571C: D1ED00CE 00FF7DBF
	v_perm_b32 v207, v191, v190, s64                           // 000000005724: D1ED00CF 01037DBF
	v_perm_b32 v208, v193, v192, s63                           // 00000000572C: D1ED00D0 00FF81C1
	v_perm_b32 v209, v193, v192, s64                           // 000000005734: D1ED00D1 010381C1
	v_perm_b32 v210, v195, v194, s63                           // 00000000573C: D1ED00D2 00FF85C3
	v_perm_b32 v211, v195, v194, s64                           // 000000005744: D1ED00D3 010385C3
	v_perm_b32 v212, v197, v196, s63                           // 00000000574C: D1ED00D4 00FF89C5
	v_perm_b32 v213, v197, v196, s64                           // 000000005754: D1ED00D5 010389C5
	v_perm_b32 v214, v199, v198, s63                           // 00000000575C: D1ED00D6 00FF8DC7
	v_perm_b32 v215, v199, v198, s64                           // 000000005764: D1ED00D7 01038DC7
	ds_write_b32 v13, v200 offset:17408                        // 00000000576C: D81A4400 0000C80D
	ds_write_b32 v13, v201 offset:18464                        // 000000005774: D81A4820 0000C90D
	ds_write_b32 v13, v202 offset:17536                        // 00000000577C: D81A4480 0000CA0D
	ds_write_b32 v13, v203 offset:18592                        // 000000005784: D81A48A0 0000CB0D
	ds_write_b32 v13, v204 offset:21760                        // 00000000578C: D81A5500 0000CC0D
	ds_write_b32 v13, v205 offset:22816                        // 000000005794: D81A5920 0000CD0D
	ds_write_b32 v13, v206 offset:21888                        // 00000000579C: D81A5580 0000CE0D
	ds_write_b32 v13, v207 offset:22944                        // 0000000057A4: D81A59A0 0000CF0D
	ds_write_b32 v13, v208 offset:26112                        // 0000000057AC: D81A6600 0000D00D
	ds_write_b32 v13, v209 offset:27168                        // 0000000057B4: D81A6A20 0000D10D
	ds_write_b32 v13, v210 offset:26240                        // 0000000057BC: D81A6680 0000D20D
	ds_write_b32 v13, v211 offset:27296                        // 0000000057C4: D81A6AA0 0000D30D
	ds_write_b32 v13, v212 offset:30464                        // 0000000057CC: D81A7700 0000D40D
	ds_write_b32 v13, v213 offset:31520                        // 0000000057D4: D81A7B20 0000D50D
	ds_write_b32 v13, v214 offset:30592                        // 0000000057DC: D81A7780 0000D60D
	ds_write_b32 v13, v215 offset:31648                        // 0000000057E4: D81A7BA0 0000D70D
	ds_write_b32 v11, v184                                     // 0000000057EC: D81A0000 0000B80B
	ds_write_b32 v11, v185 offset:1056                         // 0000000057F4: D81A0420 0000B90B
	ds_write_b32 v11, v186 offset:128                          // 0000000057FC: D81A0080 0000BA0B
	ds_write_b32 v11, v187 offset:1184                         // 000000005804: D81A04A0 0000BB0B
	ds_write_b32 v11, v188 offset:4352                         // 00000000580C: D81A1100 0000BC0B
	ds_write_b32 v11, v189 offset:5408                         // 000000005814: D81A1520 0000BD0B
	ds_write_b32 v11, v190 offset:4480                         // 00000000581C: D81A1180 0000BE0B
	ds_write_b32 v11, v191 offset:5536                         // 000000005824: D81A15A0 0000BF0B
	ds_write_b32 v11, v192 offset:8704                         // 00000000582C: D81A2200 0000C00B
	ds_write_b32 v11, v193 offset:9760                         // 000000005834: D81A2620 0000C10B
	ds_write_b32 v11, v194 offset:8832                         // 00000000583C: D81A2280 0000C20B
	ds_write_b32 v11, v195 offset:9888                         // 000000005844: D81A26A0 0000C30B
	ds_write_b32 v11, v196 offset:13056                        // 00000000584C: D81A3300 0000C40B
	ds_write_b32 v11, v197 offset:14112                        // 000000005854: D81A3720 0000C50B
	ds_write_b32 v11, v198 offset:13184                        // 00000000585C: D81A3380 0000C60B
	ds_write_b32 v11, v199 offset:14240                        // 000000005864: D81A37A0 0000C70B
	v_mov_b32_e32 v184, 0                                      // 00000000586C: 7F700280
	s_mov_b64 exec, s[90:91]                                   // 000000005870: BEFE015A
	buffer_load_dword v184, v252, s[16:19], 0 idxen            // 000000005874: E0502000 8004B8FC
	s_mov_b32 exec_lo, -1                                      // 00000000587C: BEFE00C1
	s_mov_b32 exec_hi, -1                                      // 000000005880: BEFF00C1
	v_mov_b32_e32 v185, 0                                      // 000000005884: 7F720280
	s_mov_b64 exec, s[90:91]                                   // 000000005888: BEFE015A
	buffer_load_dword v185, v253, s[16:19], 0 idxen            // 00000000588C: E0502000 8004B9FD
	s_mov_b32 exec_lo, -1                                      // 000000005894: BEFE00C1
	s_mov_b32 exec_hi, -1                                      // 000000005898: BEFF00C1
	v_mov_b32_e32 v186, 0                                      // 00000000589C: 7F740280
	s_mov_b64 exec, s[90:91]                                   // 0000000058A0: BEFE015A
	buffer_load_dword v186, v254, s[16:19], 0 idxen            // 0000000058A4: E0502000 8004BAFE
	s_mov_b32 exec_lo, -1                                      // 0000000058AC: BEFE00C1
	s_mov_b32 exec_hi, -1                                      // 0000000058B0: BEFF00C1
	v_mov_b32_e32 v187, 0                                      // 0000000058B4: 7F760280
	s_mov_b64 exec, s[90:91]                                   // 0000000058B8: BEFE015A
	buffer_load_dword v187, v255, s[16:19], 0 idxen            // 0000000058BC: E0502000 8004BBFF
	s_mov_b32 exec_lo, -1                                      // 0000000058C4: BEFE00C1
	s_mov_b32 exec_hi, -1                                      // 0000000058C8: BEFF00C1
	s_mul_i32 s60, 4, s7                                       // 0000000058CC: 923C0784
	s_cmp_lt_i32 2, s72                                        // 0000000058D0: BF044882
	s_cselect_b32 s60, s60, 0                                  // 0000000058D4: 853C803C
	v_add_u32_e32 v252, s60, v252                              // 0000000058D8: 69F9F83C
	v_add_u32_e32 v253, s60, v253                              // 0000000058DC: 69FBFA3C
	v_add_u32_e32 v254, s60, v254                              // 0000000058E0: 69FDFC3C
	v_add_u32_e32 v255, s60, v255                              // 0000000058E4: 69FFFE3C
	v_mov_b32_e32 v188, 0                                      // 0000000058E8: 7F780280
	s_mov_b64 exec, s[90:91]                                   // 0000000058EC: BEFE015A
	buffer_load_dword v188, v252, s[16:19], 0 idxen            // 0000000058F0: E0502000 8004BCFC
	s_mov_b32 exec_lo, -1                                      // 0000000058F8: BEFE00C1
	s_mov_b32 exec_hi, -1                                      // 0000000058FC: BEFF00C1
	v_mov_b32_e32 v189, 0                                      // 000000005900: 7F7A0280
	s_mov_b64 exec, s[90:91]                                   // 000000005904: BEFE015A
	buffer_load_dword v189, v253, s[16:19], 0 idxen            // 000000005908: E0502000 8004BDFD
	s_mov_b32 exec_lo, -1                                      // 000000005910: BEFE00C1
	s_mov_b32 exec_hi, -1                                      // 000000005914: BEFF00C1
	v_mov_b32_e32 v190, 0                                      // 000000005918: 7F7C0280
	s_mov_b64 exec, s[90:91]                                   // 00000000591C: BEFE015A
	buffer_load_dword v190, v254, s[16:19], 0 idxen            // 000000005920: E0502000 8004BEFE
	s_mov_b32 exec_lo, -1                                      // 000000005928: BEFE00C1
	s_mov_b32 exec_hi, -1                                      // 00000000592C: BEFF00C1
	v_mov_b32_e32 v191, 0                                      // 000000005930: 7F7E0280
	s_mov_b64 exec, s[90:91]                                   // 000000005934: BEFE015A
	buffer_load_dword v191, v255, s[16:19], 0 idxen            // 000000005938: E0502000 8004BFFF
	s_mov_b32 exec_lo, -1                                      // 000000005940: BEFE00C1
	s_mov_b32 exec_hi, -1                                      // 000000005944: BEFF00C1
	s_mul_i32 s60, 4, s7                                       // 000000005948: 923C0784
	s_cmp_lt_i32 2, s72                                        // 00000000594C: BF044882
	s_cselect_b32 s60, s60, 0                                  // 000000005950: 853C803C
	v_add_u32_e32 v252, s60, v252                              // 000000005954: 69F9F83C
	v_add_u32_e32 v253, s60, v253                              // 000000005958: 69FBFA3C
	v_add_u32_e32 v254, s60, v254                              // 00000000595C: 69FDFC3C
	v_add_u32_e32 v255, s60, v255                              // 000000005960: 69FFFE3C
	v_mov_b32_e32 v192, 0                                      // 000000005964: 7F800280
	s_mov_b64 exec, s[90:91]                                   // 000000005968: BEFE015A
	buffer_load_dword v192, v252, s[16:19], 0 idxen            // 00000000596C: E0502000 8004C0FC
	s_mov_b32 exec_lo, -1                                      // 000000005974: BEFE00C1
	s_mov_b32 exec_hi, -1                                      // 000000005978: BEFF00C1
	v_mov_b32_e32 v193, 0                                      // 00000000597C: 7F820280
	s_mov_b64 exec, s[90:91]                                   // 000000005980: BEFE015A
	buffer_load_dword v193, v253, s[16:19], 0 idxen            // 000000005984: E0502000 8004C1FD
	s_mov_b32 exec_lo, -1                                      // 00000000598C: BEFE00C1
	s_mov_b32 exec_hi, -1                                      // 000000005990: BEFF00C1
	v_mov_b32_e32 v194, 0                                      // 000000005994: 7F840280
	s_mov_b64 exec, s[90:91]                                   // 000000005998: BEFE015A
	buffer_load_dword v194, v254, s[16:19], 0 idxen            // 00000000599C: E0502000 8004C2FE
	s_mov_b32 exec_lo, -1                                      // 0000000059A4: BEFE00C1
	s_mov_b32 exec_hi, -1                                      // 0000000059A8: BEFF00C1
	v_mov_b32_e32 v195, 0                                      // 0000000059AC: 7F860280
	s_mov_b64 exec, s[90:91]                                   // 0000000059B0: BEFE015A
	buffer_load_dword v195, v255, s[16:19], 0 idxen            // 0000000059B4: E0502000 8004C3FF
	s_mov_b32 exec_lo, -1                                      // 0000000059BC: BEFE00C1
	s_mov_b32 exec_hi, -1                                      // 0000000059C0: BEFF00C1
	s_mul_i32 s60, 4, s7                                       // 0000000059C4: 923C0784
	s_cmp_lt_i32 2, s72                                        // 0000000059C8: BF044882
	s_cselect_b32 s60, s60, 0                                  // 0000000059CC: 853C803C
	v_add_u32_e32 v252, s60, v252                              // 0000000059D0: 69F9F83C
	v_add_u32_e32 v253, s60, v253                              // 0000000059D4: 69FBFA3C
	v_add_u32_e32 v254, s60, v254                              // 0000000059D8: 69FDFC3C
	v_add_u32_e32 v255, s60, v255                              // 0000000059DC: 69FFFE3C
	v_mov_b32_e32 v196, 0                                      // 0000000059E0: 7F880280
	s_mov_b64 exec, s[90:91]                                   // 0000000059E4: BEFE015A
	buffer_load_dword v196, v252, s[16:19], 0 idxen            // 0000000059E8: E0502000 8004C4FC
	s_mov_b32 exec_lo, -1                                      // 0000000059F0: BEFE00C1
	s_mov_b32 exec_hi, -1                                      // 0000000059F4: BEFF00C1
	v_mov_b32_e32 v197, 0                                      // 0000000059F8: 7F8A0280
	s_mov_b64 exec, s[90:91]                                   // 0000000059FC: BEFE015A
	buffer_load_dword v197, v253, s[16:19], 0 idxen            // 000000005A00: E0502000 8004C5FD
	s_mov_b32 exec_lo, -1                                      // 000000005A08: BEFE00C1
	s_mov_b32 exec_hi, -1                                      // 000000005A0C: BEFF00C1
	v_mov_b32_e32 v198, 0                                      // 000000005A10: 7F8C0280
	s_mov_b64 exec, s[90:91]                                   // 000000005A14: BEFE015A
	buffer_load_dword v198, v254, s[16:19], 0 idxen            // 000000005A18: E0502000 8004C6FE
	s_mov_b32 exec_lo, -1                                      // 000000005A20: BEFE00C1
	s_mov_b32 exec_hi, -1                                      // 000000005A24: BEFF00C1
	v_mov_b32_e32 v199, 0                                      // 000000005A28: 7F8E0280
	s_mov_b64 exec, s[90:91]                                   // 000000005A2C: BEFE015A
	buffer_load_dword v199, v255, s[16:19], 0 idxen            // 000000005A30: E0502000 8004C7FF
	s_mov_b32 exec_lo, -1                                      // 000000005A38: BEFE00C1
	s_mov_b32 exec_hi, -1                                      // 000000005A3C: BEFF00C1
	s_mul_i32 s60, 4, s7                                       // 000000005A40: 923C0784
	s_cmp_lt_i32 3, s72                                        // 000000005A44: BF044883
	s_cselect_b32 s60, s60, 0                                  // 000000005A48: 853C803C
	v_add_u32_e32 v252, s60, v252                              // 000000005A4C: 69F9F83C
	v_add_u32_e32 v253, s60, v253                              // 000000005A50: 69FBFA3C
	v_add_u32_e32 v254, s60, v254                              // 000000005A54: 69FDFC3C
	v_add_u32_e32 v255, s60, v255                              // 000000005A58: 69FFFE3C
	s_waitcnt lgkmcnt(0)                                       // 000000005A5C: BF8CC07F
	s_barrier                                                  // 000000005A60: BF8A0000
	ds_read_b128 a[80:83], v23 offset:17408                    // 000000005A64: DBFE4400 50000017
	ds_read_b128 a[84:87], v23 offset:17664                    // 000000005A6C: DBFE4500 54000017
	ds_read_b128 a[88:91], v23 offset:26112                    // 000000005A74: DBFE6600 58000017
	ds_read_b128 a[92:95], v23 offset:26368                    // 000000005A7C: DBFE6700 5C000017
	ds_read_b128 a[32:35], v22                                 // 000000005A84: DBFE0000 20000016
	ds_read_b128 a[36:39], v22 offset:512                      // 000000005A8C: DBFE0200 24000016
	ds_read_b128 a[40:43], v22 offset:2176                     // 000000005A94: DBFE0880 28000016
	ds_read_b128 a[44:47], v22 offset:2688                     // 000000005A9C: DBFE0A80 2C000016
	s_waitcnt vmcnt(32) lgkmcnt(0)                             // 000000005AA4: BF8C8070
	s_barrier                                                  // 000000005AA8: BF8A0000
	s_cmp_lt_i32 0, s72                                        // 000000005AAC: BF044880
	s_cbranch_scc1 label_073D                                  // 000000005AB0: BF850010
	v_mov_b32_e32 v152, 0                                      // 000000005AB4: 7F300280
	v_mov_b32_e32 v153, 0                                      // 000000005AB8: 7F320280
	v_mov_b32_e32 v154, 0                                      // 000000005ABC: 7F340280
	v_mov_b32_e32 v155, 0                                      // 000000005AC0: 7F360280
	v_mov_b32_e32 v156, 0                                      // 000000005AC4: 7F380280
	v_mov_b32_e32 v157, 0                                      // 000000005AC8: 7F3A0280
	v_mov_b32_e32 v158, 0                                      // 000000005ACC: 7F3C0280
	v_mov_b32_e32 v159, 0                                      // 000000005AD0: 7F3E0280
	v_mov_b32_e32 v160, 0                                      // 000000005AD4: 7F400280
	v_mov_b32_e32 v161, 0                                      // 000000005AD8: 7F420280
	v_mov_b32_e32 v162, 0                                      // 000000005ADC: 7F440280
	v_mov_b32_e32 v163, 0                                      // 000000005AE0: 7F460280
	v_mov_b32_e32 v164, 0                                      // 000000005AE4: 7F480280
	v_mov_b32_e32 v165, 0                                      // 000000005AE8: 7F4A0280
	v_mov_b32_e32 v166, 0                                      // 000000005AEC: 7F4C0280
	v_mov_b32_e32 v167, 0                                      // 000000005AF0: 7F4E0280

0000000000005af4 <label_073D>:
	ds_write_b32 v11, v152                                     // 000000005AF4: D81A0000 0000980B
	ds_write_b32 v11, v153 offset:1056                         // 000000005AFC: D81A0420 0000990B
	ds_write_b32 v11, v154 offset:128                          // 000000005B04: D81A0080 00009A0B
	ds_write_b32 v11, v155 offset:1184                         // 000000005B0C: D81A04A0 00009B0B
	ds_write_b32 v11, v156 offset:4352                         // 000000005B14: D81A1100 00009C0B
	ds_write_b32 v11, v157 offset:5408                         // 000000005B1C: D81A1520 00009D0B
	ds_write_b32 v11, v158 offset:4480                         // 000000005B24: D81A1180 00009E0B
	ds_write_b32 v11, v159 offset:5536                         // 000000005B2C: D81A15A0 00009F0B
	ds_write_b32 v11, v160 offset:8704                         // 000000005B34: D81A2200 0000A00B
	ds_write_b32 v11, v161 offset:9760                         // 000000005B3C: D81A2620 0000A10B
	ds_write_b32 v11, v162 offset:8832                         // 000000005B44: D81A2280 0000A20B
	ds_write_b32 v11, v163 offset:9888                         // 000000005B4C: D81A26A0 0000A30B
	ds_write_b32 v11, v164 offset:13056                        // 000000005B54: D81A3300 0000A40B
	ds_write_b32 v11, v165 offset:14112                        // 000000005B5C: D81A3720 0000A50B
	ds_write_b32 v11, v166 offset:13184                        // 000000005B64: D81A3380 0000A60B
	ds_write_b32 v11, v167 offset:14240                        // 000000005B6C: D81A37A0 0000A70B
	s_mov_b32 s71, s5                                          // 000000005B74: BEC70005
	v_lshrrev_b32_e32 v28, 4, v0                               // 000000005B78: 20380084
	v_and_b32_e32 v29, 1, v28                                  // 000000005B7C: 263A3881
	v_lshlrev_b32_e32 v29, 1, v29                              // 000000005B80: 243A3A81
	v_mul_i32_i24_e32 v29, s71, v29                            // 000000005B84: 0C3A3A47
	v_and_b32_e32 v30, 2, v28                                  // 000000005B88: 263C3882
	v_lshlrev_b32_e32 v30, 5, v30                              // 000000005B8C: 243C3C85
	v_add_u32_e32 v29, v30, v29                                // 000000005B90: 683A3B1E
	v_and_b32_e32 v28, 15, v0                                  // 000000005B94: 2638008F
	v_lshlrev_b32_e32 v28, 2, v28                              // 000000005B98: 24383882
	v_add_u32_e32 v1, v28, v29                                 // 000000005B9C: 68023B1C
	s_and_b32 s60, 1, s46                                      // 000000005BA0: 863C2E81
	s_mul_i32 s60, s60, s71                                    // 000000005BA4: 923C473C
	s_mul_i32 s60, s60, 8                                      // 000000005BA8: 923C883C
	s_lshr_b32 s61, s46, 1                                     // 000000005BAC: 8F3D812E
	s_mul_i32 s61, s61, 0x80                                   // 000000005BB0: 923DFF3D 00000080
	s_add_u32 s60, s60, s61                                    // 000000005BB8: 803C3D3C
	v_add_u32_e32 v1, s60, v1                                  // 000000005BBC: 6802023C
	v_add_u32_e32 v2, s71, v1                                  // 000000005BC0: 68040247
	s_mul_i32 s60, 4, s71                                      // 000000005BC4: 923C4784
	v_add_u32_e32 v3, s60, v1                                  // 000000005BC8: 6806023C
	v_add_u32_e32 v4, s60, v2                                  // 000000005BCC: 6808043C
	s_mov_b32 s71, s51                                         // 000000005BD0: BEC70033
	v_lshrrev_b32_e32 v28, 4, v0                               // 000000005BD4: 20380084
	v_and_b32_e32 v29, 1, v28                                  // 000000005BD8: 263A3881
	v_lshlrev_b32_e32 v29, 1, v29                              // 000000005BDC: 243A3A81
	v_mul_i32_i24_e32 v29, s71, v29                            // 000000005BE0: 0C3A3A47
	v_and_b32_e32 v30, 2, v28                                  // 000000005BE4: 263C3882
	v_lshlrev_b32_e32 v30, 5, v30                              // 000000005BE8: 243C3C85
	v_add_u32_e32 v29, v30, v29                                // 000000005BEC: 683A3B1E
	v_and_b32_e32 v28, 15, v0                                  // 000000005BF0: 2638008F
	v_lshlrev_b32_e32 v28, 2, v28                              // 000000005BF4: 24383882
	v_add_u32_e32 v252, v28, v29                               // 000000005BF8: 69F83B1C
	s_and_b32 s60, 1, s46                                      // 000000005BFC: 863C2E81
	s_mul_i32 s60, s60, s71                                    // 000000005C00: 923C473C
	s_mul_i32 s60, s60, 8                                      // 000000005C04: 923C883C
	s_lshr_b32 s61, s46, 1                                     // 000000005C08: 8F3D812E
	s_mul_i32 s61, s61, 0x80                                   // 000000005C0C: 923DFF3D 00000080
	s_add_u32 s60, s60, s61                                    // 000000005C14: 803C3D3C
	v_add_u32_e32 v252, s60, v252                              // 000000005C18: 69F9F83C
	v_add_u32_e32 v253, s71, v252                              // 000000005C1C: 69FBF847
	s_mul_i32 s60, 4, s71                                      // 000000005C20: 923C4784
	v_add_u32_e32 v254, s60, v252                              // 000000005C24: 69FDF83C
	v_add_u32_e32 v255, s60, v253                              // 000000005C28: 69FFFA3C
	v_lshrrev_b32_e32 v1, 2, v1                                // 000000005C2C: 20020282
	v_lshrrev_b32_e32 v2, 2, v2                                // 000000005C30: 20040482
	v_lshrrev_b32_e32 v3, 2, v3                                // 000000005C34: 20060682
	v_lshrrev_b32_e32 v4, 2, v4                                // 000000005C38: 20080882
	v_lshrrev_b32_e32 v252, 2, v252                            // 000000005C3C: 21F9F882
	v_lshrrev_b32_e32 v253, 2, v253                            // 000000005C40: 21FBFA82
	v_lshrrev_b32_e32 v254, 2, v254                            // 000000005C44: 21FDFC82
	v_lshrrev_b32_e32 v255, 2, v255                            // 000000005C48: 21FFFE82
	v_mov_b32_e32 v32, 0                                       // 000000005C4C: 7E400280
	s_mov_b64 exec, s[90:91]                                   // 000000005C50: BEFE015A
	buffer_load_dword v32, v1, s[8:11], 0 idxen                // 000000005C54: E0502000 80022001
	s_mov_b32 exec_lo, -1                                      // 000000005C5C: BEFE00C1
	s_mov_b32 exec_hi, -1                                      // 000000005C60: BEFF00C1
	v_mov_b32_e32 v33, 0                                       // 000000005C64: 7E420280
	s_mov_b64 exec, s[90:91]                                   // 000000005C68: BEFE015A
	buffer_load_dword v33, v2, s[8:11], 0 idxen                // 000000005C6C: E0502000 80022102
	s_mov_b32 exec_lo, -1                                      // 000000005C74: BEFE00C1
	s_mov_b32 exec_hi, -1                                      // 000000005C78: BEFF00C1
	v_mov_b32_e32 v34, 0                                       // 000000005C7C: 7E440280
	s_mov_b64 exec, s[90:91]                                   // 000000005C80: BEFE015A
	buffer_load_dword v34, v3, s[8:11], 0 idxen                // 000000005C84: E0502000 80022203
	s_mov_b32 exec_lo, -1                                      // 000000005C8C: BEFE00C1
	s_mov_b32 exec_hi, -1                                      // 000000005C90: BEFF00C1
	v_mov_b32_e32 v35, 0                                       // 000000005C94: 7E460280
	s_mov_b64 exec, s[90:91]                                   // 000000005C98: BEFE015A
	buffer_load_dword v35, v4, s[8:11], 0 idxen                // 000000005C9C: E0502000 80022304
	s_mov_b32 exec_lo, -1                                      // 000000005CA4: BEFE00C1
	s_mov_b32 exec_hi, -1                                      // 000000005CA8: BEFF00C1
	v_mov_b32_e32 v40, 0                                       // 000000005CAC: 7E500280
	s_mov_b64 exec, s[90:91]                                   // 000000005CB0: BEFE015A
	buffer_load_dword v40, v252, s[20:23], 0 idxen             // 000000005CB4: E0502000 800528FC
	s_mov_b32 exec_lo, -1                                      // 000000005CBC: BEFE00C1
	s_mov_b32 exec_hi, -1                                      // 000000005CC0: BEFF00C1
	v_mov_b32_e32 v41, 0                                       // 000000005CC4: 7E520280
	s_mov_b64 exec, s[90:91]                                   // 000000005CC8: BEFE015A
	buffer_load_dword v41, v253, s[20:23], 0 idxen             // 000000005CCC: E0502000 800529FD
	s_mov_b32 exec_lo, -1                                      // 000000005CD4: BEFE00C1
	s_mov_b32 exec_hi, -1                                      // 000000005CD8: BEFF00C1
	v_mov_b32_e32 v42, 0                                       // 000000005CDC: 7E540280
	s_mov_b64 exec, s[90:91]                                   // 000000005CE0: BEFE015A
	buffer_load_dword v42, v254, s[20:23], 0 idxen             // 000000005CE4: E0502000 80052AFE
	s_mov_b32 exec_lo, -1                                      // 000000005CEC: BEFE00C1
	s_mov_b32 exec_hi, -1                                      // 000000005CF0: BEFF00C1
	v_mov_b32_e32 v43, 0                                       // 000000005CF4: 7E560280
	s_mov_b64 exec, s[90:91]                                   // 000000005CF8: BEFE015A
	buffer_load_dword v43, v255, s[20:23], 0 idxen             // 000000005CFC: E0502000 80052BFF
	s_mov_b32 exec_lo, -1                                      // 000000005D04: BEFE00C1
	s_mov_b32 exec_hi, -1                                      // 000000005D08: BEFF00C1
	s_waitcnt lgkmcnt(0)                                       // 000000005D0C: BF8CC07F
	s_barrier                                                  // 000000005D10: BF8A0000
	ds_read_b128 a[96:99], v22                                 // 000000005D14: DBFE0000 60000016
	ds_read_b128 a[100:103], v22 offset:512                    // 000000005D1C: DBFE0200 64000016
	ds_read_b128 a[104:107], v22 offset:2176                   // 000000005D24: DBFE0880 68000016
	ds_read_b128 a[108:111], v22 offset:2688                   // 000000005D2C: DBFE0A80 6C000016
	v_add_u32_e32 v1, s68, v1                                  // 000000005D34: 68020244
	v_add_u32_e32 v2, s68, v2                                  // 000000005D38: 68040444
	v_add_u32_e32 v3, s68, v3                                  // 000000005D3C: 68060644
	v_add_u32_e32 v4, s68, v4                                  // 000000005D40: 68080844
	v_add_u32_e32 v252, s99, v252                              // 000000005D44: 69F9F863
	v_add_u32_e32 v253, s99, v253                              // 000000005D48: 69FBFA63
	v_add_u32_e32 v254, s99, v254                              // 000000005D4C: 69FDFC63
	v_add_u32_e32 v255, s99, v255                              // 000000005D50: 69FFFE63
	s_waitcnt vmcnt(24) lgkmcnt(0)                             // 000000005D54: BF8C4078
	s_barrier                                                  // 000000005D58: BF8A0000
	s_cmp_lt_i32 1, s72                                        // 000000005D5C: BF044881
	s_cbranch_scc1 label_07E9                                  // 000000005D60: BF850010
	v_mov_b32_e32 v168, 0                                      // 000000005D64: 7F500280
	v_mov_b32_e32 v169, 0                                      // 000000005D68: 7F520280
	v_mov_b32_e32 v170, 0                                      // 000000005D6C: 7F540280
	v_mov_b32_e32 v171, 0                                      // 000000005D70: 7F560280
	v_mov_b32_e32 v172, 0                                      // 000000005D74: 7F580280
	v_mov_b32_e32 v173, 0                                      // 000000005D78: 7F5A0280
	v_mov_b32_e32 v174, 0                                      // 000000005D7C: 7F5C0280
	v_mov_b32_e32 v175, 0                                      // 000000005D80: 7F5E0280
	v_mov_b32_e32 v176, 0                                      // 000000005D84: 7F600280
	v_mov_b32_e32 v177, 0                                      // 000000005D88: 7F620280
	v_mov_b32_e32 v178, 0                                      // 000000005D8C: 7F640280
	v_mov_b32_e32 v179, 0                                      // 000000005D90: 7F660280
	v_mov_b32_e32 v180, 0                                      // 000000005D94: 7F680280
	v_mov_b32_e32 v181, 0                                      // 000000005D98: 7F6A0280
	v_mov_b32_e32 v182, 0                                      // 000000005D9C: 7F6C0280
	v_mov_b32_e32 v183, 0                                      // 000000005DA0: 7F6E0280

0000000000005da4 <label_07E9>:
	ds_write_b32 v11, v168                                     // 000000005DA4: D81A0000 0000A80B
	ds_write_b32 v11, v169 offset:1056                         // 000000005DAC: D81A0420 0000A90B
	ds_write_b32 v11, v170 offset:128                          // 000000005DB4: D81A0080 0000AA0B
	ds_write_b32 v11, v171 offset:1184                         // 000000005DBC: D81A04A0 0000AB0B
	ds_write_b32 v11, v172 offset:4352                         // 000000005DC4: D81A1100 0000AC0B
	ds_write_b32 v11, v173 offset:5408                         // 000000005DCC: D81A1520 0000AD0B
	ds_write_b32 v11, v174 offset:4480                         // 000000005DD4: D81A1180 0000AE0B
	ds_write_b32 v11, v175 offset:5536                         // 000000005DDC: D81A15A0 0000AF0B
	ds_write_b32 v11, v176 offset:8704                         // 000000005DE4: D81A2200 0000B00B
	ds_write_b32 v11, v177 offset:9760                         // 000000005DEC: D81A2620 0000B10B
	ds_write_b32 v11, v178 offset:8832                         // 000000005DF4: D81A2280 0000B20B
	ds_write_b32 v11, v179 offset:9888                         // 000000005DFC: D81A26A0 0000B30B
	ds_write_b32 v11, v180 offset:13056                        // 000000005E04: D81A3300 0000B40B
	ds_write_b32 v11, v181 offset:14112                        // 000000005E0C: D81A3720 0000B50B
	ds_write_b32 v11, v182 offset:13184                        // 000000005E14: D81A3380 0000B60B
	ds_write_b32 v11, v183 offset:14240                        // 000000005E1C: D81A37A0 0000B70B
	v_mov_b32_e32 v36, 0                                       // 000000005E24: 7E480280
	s_mov_b64 exec, s[90:91]                                   // 000000005E28: BEFE015A
	buffer_load_dword v36, v1, s[8:11], 0 idxen                // 000000005E2C: E0502000 80022401
	s_mov_b32 exec_lo, -1                                      // 000000005E34: BEFE00C1
	s_mov_b32 exec_hi, -1                                      // 000000005E38: BEFF00C1
	v_mov_b32_e32 v37, 0                                       // 000000005E3C: 7E4A0280
	s_mov_b64 exec, s[90:91]                                   // 000000005E40: BEFE015A
	buffer_load_dword v37, v2, s[8:11], 0 idxen                // 000000005E44: E0502000 80022502
	s_mov_b32 exec_lo, -1                                      // 000000005E4C: BEFE00C1
	s_mov_b32 exec_hi, -1                                      // 000000005E50: BEFF00C1
	v_mov_b32_e32 v38, 0                                       // 000000005E54: 7E4C0280
	s_mov_b64 exec, s[90:91]                                   // 000000005E58: BEFE015A
	buffer_load_dword v38, v3, s[8:11], 0 idxen                // 000000005E5C: E0502000 80022603
	s_mov_b32 exec_lo, -1                                      // 000000005E64: BEFE00C1
	s_mov_b32 exec_hi, -1                                      // 000000005E68: BEFF00C1
	v_mov_b32_e32 v39, 0                                       // 000000005E6C: 7E4E0280
	s_mov_b64 exec, s[90:91]                                   // 000000005E70: BEFE015A
	buffer_load_dword v39, v4, s[8:11], 0 idxen                // 000000005E74: E0502000 80022704
	s_mov_b32 exec_lo, -1                                      // 000000005E7C: BEFE00C1
	s_mov_b32 exec_hi, -1                                      // 000000005E80: BEFF00C1
	v_mov_b32_e32 v44, 0                                       // 000000005E84: 7E580280
	s_mov_b64 exec, s[90:91]                                   // 000000005E88: BEFE015A
	buffer_load_dword v44, v252, s[20:23], 0 idxen             // 000000005E8C: E0502000 80052CFC
	s_mov_b32 exec_lo, -1                                      // 000000005E94: BEFE00C1
	s_mov_b32 exec_hi, -1                                      // 000000005E98: BEFF00C1
	v_mov_b32_e32 v45, 0                                       // 000000005E9C: 7E5A0280
	s_mov_b64 exec, s[90:91]                                   // 000000005EA0: BEFE015A
	buffer_load_dword v45, v253, s[20:23], 0 idxen             // 000000005EA4: E0502000 80052DFD
	s_mov_b32 exec_lo, -1                                      // 000000005EAC: BEFE00C1
	s_mov_b32 exec_hi, -1                                      // 000000005EB0: BEFF00C1
	v_mov_b32_e32 v46, 0                                       // 000000005EB4: 7E5C0280
	s_mov_b64 exec, s[90:91]                                   // 000000005EB8: BEFE015A
	buffer_load_dword v46, v254, s[20:23], 0 idxen             // 000000005EBC: E0502000 80052EFE
	s_mov_b32 exec_lo, -1                                      // 000000005EC4: BEFE00C1
	s_mov_b32 exec_hi, -1                                      // 000000005EC8: BEFF00C1
	v_mov_b32_e32 v47, 0                                       // 000000005ECC: 7E5E0280
	s_mov_b64 exec, s[90:91]                                   // 000000005ED0: BEFE015A
	buffer_load_dword v47, v255, s[20:23], 0 idxen             // 000000005ED4: E0502000 80052FFF
	s_mov_b32 exec_lo, -1                                      // 000000005EDC: BEFE00C1
	s_mov_b32 exec_hi, -1                                      // 000000005EE0: BEFF00C1
	s_waitcnt lgkmcnt(0)                                       // 000000005EE4: BF8CC07F
	s_barrier                                                  // 000000005EE8: BF8A0000
	ds_read_b128 a[112:115], v22                               // 000000005EEC: DBFE0000 70000016
	ds_read_b128 a[116:119], v22 offset:512                    // 000000005EF4: DBFE0200 74000016
	ds_read_b128 a[120:123], v22 offset:2176                   // 000000005EFC: DBFE0880 78000016
	ds_read_b128 a[124:127], v22 offset:2688                   // 000000005F04: DBFE0A80 7C000016
	v_add_u32_e32 v1, s68, v1                                  // 000000005F0C: 68020244
	v_add_u32_e32 v2, s68, v2                                  // 000000005F10: 68040444
	v_add_u32_e32 v3, s68, v3                                  // 000000005F14: 68060644
	v_add_u32_e32 v4, s68, v4                                  // 000000005F18: 68080844
	v_add_u32_e32 v252, s99, v252                              // 000000005F1C: 69F9F863
	v_add_u32_e32 v253, s99, v253                              // 000000005F20: 69FBFA63
	v_add_u32_e32 v254, s99, v254                              // 000000005F24: 69FDFC63
	v_add_u32_e32 v255, s99, v255                              // 000000005F28: 69FFFE63
	s_waitcnt vmcnt(16) lgkmcnt(0)                             // 000000005F2C: BF8C4070
	s_barrier                                                  // 000000005F30: BF8A0000
	s_cmp_lt_i32 2, s72                                        // 000000005F34: BF044882
	s_cbranch_scc1 label_085F                                  // 000000005F38: BF850010
	v_mov_b32_e32 v184, 0                                      // 000000005F3C: 7F700280
	v_mov_b32_e32 v185, 0                                      // 000000005F40: 7F720280
	v_mov_b32_e32 v186, 0                                      // 000000005F44: 7F740280
	v_mov_b32_e32 v187, 0                                      // 000000005F48: 7F760280
	v_mov_b32_e32 v188, 0                                      // 000000005F4C: 7F780280
	v_mov_b32_e32 v189, 0                                      // 000000005F50: 7F7A0280
	v_mov_b32_e32 v190, 0                                      // 000000005F54: 7F7C0280
	v_mov_b32_e32 v191, 0                                      // 000000005F58: 7F7E0280
	v_mov_b32_e32 v192, 0                                      // 000000005F5C: 7F800280
	v_mov_b32_e32 v193, 0                                      // 000000005F60: 7F820280
	v_mov_b32_e32 v194, 0                                      // 000000005F64: 7F840280
	v_mov_b32_e32 v195, 0                                      // 000000005F68: 7F860280
	v_mov_b32_e32 v196, 0                                      // 000000005F6C: 7F880280
	v_mov_b32_e32 v197, 0                                      // 000000005F70: 7F8A0280
	v_mov_b32_e32 v198, 0                                      // 000000005F74: 7F8C0280
	v_mov_b32_e32 v199, 0                                      // 000000005F78: 7F8E0280

0000000000005f7c <label_085F>:
	ds_write_b32 v11, v184                                     // 000000005F7C: D81A0000 0000B80B
	ds_write_b32 v11, v185 offset:1056                         // 000000005F84: D81A0420 0000B90B
	ds_write_b32 v11, v186 offset:128                          // 000000005F8C: D81A0080 0000BA0B
	ds_write_b32 v11, v187 offset:1184                         // 000000005F94: D81A04A0 0000BB0B
	ds_write_b32 v11, v188 offset:4352                         // 000000005F9C: D81A1100 0000BC0B
	ds_write_b32 v11, v189 offset:5408                         // 000000005FA4: D81A1520 0000BD0B
	ds_write_b32 v11, v190 offset:4480                         // 000000005FAC: D81A1180 0000BE0B
	ds_write_b32 v11, v191 offset:5536                         // 000000005FB4: D81A15A0 0000BF0B
	ds_write_b32 v11, v192 offset:8704                         // 000000005FBC: D81A2200 0000C00B
	ds_write_b32 v11, v193 offset:9760                         // 000000005FC4: D81A2620 0000C10B
	ds_write_b32 v11, v194 offset:8832                         // 000000005FCC: D81A2280 0000C20B
	ds_write_b32 v11, v195 offset:9888                         // 000000005FD4: D81A26A0 0000C30B
	ds_write_b32 v11, v196 offset:13056                        // 000000005FDC: D81A3300 0000C40B
	ds_write_b32 v11, v197 offset:14112                        // 000000005FE4: D81A3720 0000C50B
	ds_write_b32 v11, v198 offset:13184                        // 000000005FEC: D81A3380 0000C60B
	ds_write_b32 v11, v199 offset:14240                        // 000000005FF4: D81A37A0 0000C70B
	s_waitcnt lgkmcnt(0)                                       // 000000005FFC: BF8CC07F
	s_barrier                                                  // 000000006000: BF8A0000
	ds_read_b128 a[128:131], v22                               // 000000006004: DBFE0000 80000016
	ds_read_b128 a[132:135], v22 offset:512                    // 00000000600C: DBFE0200 84000016
	ds_read_b128 a[136:139], v22 offset:2176                   // 000000006014: DBFE0880 88000016
	ds_read_b128 a[140:143], v22 offset:2688                   // 00000000601C: DBFE0A80 8C000016
	s_waitcnt vmcnt(8) lgkmcnt(0)                              // 000000006024: BF8C0078
	s_barrier                                                  // 000000006028: BF8A0000
	buffer_load_dword v9, s[24:27], 0 idxen lds                // 00000000602C: E0512000 80060009
	s_mov_b32 m0, s81                                          // 000000006034: BEFC0051
	v_add_u32_e32 v9, s69, v9                                  // 000000006038: 68121245
	v_perm_b32 v84, v33, v32, s63                              // 00000000603C: D1ED0054 00FE4121
	v_perm_b32 v85, v33, v32, s64                              // 000000006044: D1ED0055 01024121
	v_perm_b32 v86, v35, v34, s63                              // 00000000604C: D1ED0056 00FE4523
	v_perm_b32 v87, v35, v34, s64                              // 000000006054: D1ED0057 01024523
	ds_write_b32 v13, v84 offset:4352                          // 00000000605C: D81A1100 0000540D
	ds_write_b32 v13, v85 offset:5408                          // 000000006064: D81A1520 0000550D
	ds_write_b32 v13, v86 offset:4480                          // 00000000606C: D81A1180 0000560D
	ds_write_b32 v13, v87 offset:5536                          // 000000006074: D81A15A0 0000570D
	ds_write_b32 v11, v32                                      // 00000000607C: D81A0000 0000200B
	ds_write_b32 v11, v33 offset:1056                          // 000000006084: D81A0420 0000210B
	ds_write_b32 v11, v34 offset:128                           // 00000000608C: D81A0080 0000220B
	ds_write_b32 v11, v35 offset:1184                          // 000000006094: D81A04A0 0000230B
	buffer_load_dword v9, s[24:27], 0 idxen lds                // 00000000609C: E0512000 80060009
	s_mov_b32 m0, s80                                          // 0000000060A4: BEFC0050
	v_add_u32_e32 v9, s69, v9                                  // 0000000060A8: 68121245
	v_perm_b32 v88, v41, v40, s63                              // 0000000060AC: D1ED0058 00FE5129
	v_perm_b32 v89, v41, v40, s64                              // 0000000060B4: D1ED0059 01025129
	v_perm_b32 v90, v43, v42, s63                              // 0000000060BC: D1ED005A 00FE552B
	v_perm_b32 v91, v43, v42, s64                              // 0000000060C4: D1ED005B 0102552B
	ds_write_b32 v13, v88 offset:13056                         // 0000000060CC: D81A3300 0000580D
	ds_write_b32 v13, v89 offset:14112                         // 0000000060D4: D81A3720 0000590D
	ds_write_b32 v13, v90 offset:13184                         // 0000000060DC: D81A3380 00005A0D
	ds_write_b32 v13, v91 offset:14240                         // 0000000060E4: D81A37A0 00005B0D
	ds_write_b32 v11, v40 offset:8704                          // 0000000060EC: D81A2200 0000280B
	ds_write_b32 v11, v41 offset:9760                          // 0000000060F4: D81A2620 0000290B
	ds_write_b32 v11, v42 offset:8832                          // 0000000060FC: D81A2280 00002A0B
	ds_write_b32 v11, v43 offset:9888                          // 000000006104: D81A26A0 00002B0B
	s_waitcnt vmcnt(1) lgkmcnt(0)                              // 00000000610C: BF8C0071
	s_barrier                                                  // 000000006110: BF8A0000
	ds_read_b128 a[144:147], v10                               // 000000006114: DBFE0000 9000000A
	ds_read_b128 a[148:151], v10 offset:512                    // 00000000611C: DBFE0200 9400000A
	ds_read_b128 a[152:155], v10 offset:2176                   // 000000006124: DBFE0880 9800000A
	ds_read_b128 a[156:159], v10 offset:2688                   // 00000000612C: DBFE0A80 9C00000A
	ds_read_b128 v[92:95], v10 offset:8704                     // 000000006134: D9FE2200 5C00000A
	ds_read_b128 v[96:99], v10 offset:9216                     // 00000000613C: D9FE2400 6000000A
	ds_read_b128 v[100:103], v10 offset:10880                  // 000000006144: D9FE2A80 6400000A
	ds_read_b128 v[104:107], v10 offset:11392                  // 00000000614C: D9FE2C80 6800000A
	ds_read_b32 v124, v21 offset:50688                         // 000000006154: D86CC600 7C000015
	ds_read_b32 v150, v21 offset:50944                         // 00000000615C: D86CC700 96000015
	v_accvgpr_write_b32 a160, 0                                // 000000006164: D3D940A0 18000080
	v_mov_b32_e32 v152, 0                                      // 00000000616C: 7F300280
	v_accvgpr_write_b32 a161, 0                                // 000000006170: D3D940A1 18000080
	v_mov_b32_e32 v153, 0                                      // 000000006178: 7F320280
	v_accvgpr_write_b32 a162, 0                                // 00000000617C: D3D940A2 18000080
	v_mov_b32_e32 v154, 0                                      // 000000006184: 7F340280
	v_accvgpr_write_b32 a163, 0                                // 000000006188: D3D940A3 18000080
	v_mov_b32_e32 v155, 0                                      // 000000006190: 7F360280
	v_accvgpr_write_b32 a164, 0                                // 000000006194: D3D940A4 18000080
	v_mov_b32_e32 v156, 0                                      // 00000000619C: 7F380280
	v_accvgpr_write_b32 a165, 0                                // 0000000061A0: D3D940A5 18000080
	v_mov_b32_e32 v157, 0                                      // 0000000061A8: 7F3A0280
	v_accvgpr_write_b32 a166, 0                                // 0000000061AC: D3D940A6 18000080
	v_mov_b32_e32 v158, 0                                      // 0000000061B4: 7F3C0280
	v_accvgpr_write_b32 a167, 0                                // 0000000061B8: D3D940A7 18000080
	v_mov_b32_e32 v159, 0                                      // 0000000061C0: 7F3E0280
	v_accvgpr_write_b32 a168, 0                                // 0000000061C4: D3D940A8 18000080
	v_mov_b32_e32 v160, 0                                      // 0000000061CC: 7F400280
	v_accvgpr_write_b32 a169, 0                                // 0000000061D0: D3D940A9 18000080
	v_mov_b32_e32 v161, 0                                      // 0000000061D8: 7F420280
	v_accvgpr_write_b32 a170, 0                                // 0000000061DC: D3D940AA 18000080
	v_mov_b32_e32 v162, 0                                      // 0000000061E4: 7F440280
	v_accvgpr_write_b32 a171, 0                                // 0000000061E8: D3D940AB 18000080
	v_mov_b32_e32 v163, 0                                      // 0000000061F0: 7F460280
	v_accvgpr_write_b32 a172, 0                                // 0000000061F4: D3D940AC 18000080
	v_mov_b32_e32 v164, 0                                      // 0000000061FC: 7F480280
	v_accvgpr_write_b32 a173, 0                                // 000000006200: D3D940AD 18000080
	v_mov_b32_e32 v165, 0                                      // 000000006208: 7F4A0280
	v_accvgpr_write_b32 a174, 0                                // 00000000620C: D3D940AE 18000080
	v_mov_b32_e32 v166, 0                                      // 000000006214: 7F4C0280
	v_accvgpr_write_b32 a175, 0                                // 000000006218: D3D940AF 18000080
	v_mov_b32_e32 v167, 0                                      // 000000006220: 7F4E0280
	v_accvgpr_write_b32 a176, 0                                // 000000006224: D3D940B0 18000080
	v_mov_b32_e32 v168, 0                                      // 00000000622C: 7F500280
	v_accvgpr_write_b32 a177, 0                                // 000000006230: D3D940B1 18000080
	v_mov_b32_e32 v169, 0                                      // 000000006238: 7F520280
	v_accvgpr_write_b32 a178, 0                                // 00000000623C: D3D940B2 18000080
	v_mov_b32_e32 v170, 0                                      // 000000006244: 7F540280
	v_accvgpr_write_b32 a179, 0                                // 000000006248: D3D940B3 18000080
	v_mov_b32_e32 v171, 0                                      // 000000006250: 7F560280
	v_accvgpr_write_b32 a180, 0                                // 000000006254: D3D940B4 18000080
	v_mov_b32_e32 v172, 0                                      // 00000000625C: 7F580280
	v_accvgpr_write_b32 a181, 0                                // 000000006260: D3D940B5 18000080
	v_mov_b32_e32 v173, 0                                      // 000000006268: 7F5A0280
	v_accvgpr_write_b32 a182, 0                                // 00000000626C: D3D940B6 18000080
	v_mov_b32_e32 v174, 0                                      // 000000006274: 7F5C0280
	v_accvgpr_write_b32 a183, 0                                // 000000006278: D3D940B7 18000080
	v_mov_b32_e32 v175, 0                                      // 000000006280: 7F5E0280
	v_accvgpr_write_b32 a184, 0                                // 000000006284: D3D940B8 18000080
	v_mov_b32_e32 v176, 0                                      // 00000000628C: 7F600280
	v_accvgpr_write_b32 a185, 0                                // 000000006290: D3D940B9 18000080
	v_mov_b32_e32 v177, 0                                      // 000000006298: 7F620280
	v_accvgpr_write_b32 a186, 0                                // 00000000629C: D3D940BA 18000080
	v_mov_b32_e32 v178, 0                                      // 0000000062A4: 7F640280
	v_accvgpr_write_b32 a187, 0                                // 0000000062A8: D3D940BB 18000080
	v_mov_b32_e32 v179, 0                                      // 0000000062B0: 7F660280
	v_accvgpr_write_b32 a188, 0                                // 0000000062B4: D3D940BC 18000080
	v_mov_b32_e32 v180, 0                                      // 0000000062BC: 7F680280
	v_accvgpr_write_b32 a189, 0                                // 0000000062C0: D3D940BD 18000080
	v_mov_b32_e32 v181, 0                                      // 0000000062C8: 7F6A0280
	v_accvgpr_write_b32 a190, 0                                // 0000000062CC: D3D940BE 18000080
	v_mov_b32_e32 v182, 0                                      // 0000000062D4: 7F6C0280
	v_accvgpr_write_b32 a191, 0                                // 0000000062D8: D3D940BF 18000080
	v_mov_b32_e32 v183, 0                                      // 0000000062E0: 7F6E0280
	v_accvgpr_write_b32 a192, 0                                // 0000000062E4: D3D940C0 18000080
	v_mov_b32_e32 v184, 0                                      // 0000000062EC: 7F700280
	v_accvgpr_write_b32 a193, 0                                // 0000000062F0: D3D940C1 18000080
	v_mov_b32_e32 v185, 0                                      // 0000000062F8: 7F720280
	v_accvgpr_write_b32 a194, 0                                // 0000000062FC: D3D940C2 18000080
	v_mov_b32_e32 v186, 0                                      // 000000006304: 7F740280
	v_accvgpr_write_b32 a195, 0                                // 000000006308: D3D940C3 18000080
	v_mov_b32_e32 v187, 0                                      // 000000006310: 7F760280
	v_accvgpr_write_b32 a196, 0                                // 000000006314: D3D940C4 18000080
	v_mov_b32_e32 v188, 0                                      // 00000000631C: 7F780280
	v_accvgpr_write_b32 a197, 0                                // 000000006320: D3D940C5 18000080
	v_mov_b32_e32 v189, 0                                      // 000000006328: 7F7A0280
	v_accvgpr_write_b32 a198, 0                                // 00000000632C: D3D940C6 18000080
	v_mov_b32_e32 v190, 0                                      // 000000006334: 7F7C0280
	v_accvgpr_write_b32 a199, 0                                // 000000006338: D3D940C7 18000080
	v_mov_b32_e32 v191, 0                                      // 000000006340: 7F7E0280
	v_accvgpr_write_b32 a200, 0                                // 000000006344: D3D940C8 18000080
	v_mov_b32_e32 v192, 0                                      // 00000000634C: 7F800280
	v_accvgpr_write_b32 a201, 0                                // 000000006350: D3D940C9 18000080
	v_mov_b32_e32 v193, 0                                      // 000000006358: 7F820280
	v_accvgpr_write_b32 a202, 0                                // 00000000635C: D3D940CA 18000080
	v_mov_b32_e32 v194, 0                                      // 000000006364: 7F840280
	v_accvgpr_write_b32 a203, 0                                // 000000006368: D3D940CB 18000080
	v_mov_b32_e32 v195, 0                                      // 000000006370: 7F860280
	v_accvgpr_write_b32 a204, 0                                // 000000006374: D3D940CC 18000080
	v_mov_b32_e32 v196, 0                                      // 00000000637C: 7F880280
	v_accvgpr_write_b32 a205, 0                                // 000000006380: D3D940CD 18000080
	v_mov_b32_e32 v197, 0                                      // 000000006388: 7F8A0280
	v_accvgpr_write_b32 a206, 0                                // 00000000638C: D3D940CE 18000080
	v_mov_b32_e32 v198, 0                                      // 000000006394: 7F8C0280
	v_accvgpr_write_b32 a207, 0                                // 000000006398: D3D940CF 18000080
	v_mov_b32_e32 v199, 0                                      // 0000000063A0: 7F8E0280
	v_accvgpr_write_b32 a208, 0                                // 0000000063A4: D3D940D0 18000080
	v_mov_b32_e32 v200, 0                                      // 0000000063AC: 7F900280
	v_accvgpr_write_b32 a209, 0                                // 0000000063B0: D3D940D1 18000080
	v_mov_b32_e32 v201, 0                                      // 0000000063B8: 7F920280
	v_accvgpr_write_b32 a210, 0                                // 0000000063BC: D3D940D2 18000080
	v_mov_b32_e32 v202, 0                                      // 0000000063C4: 7F940280
	v_accvgpr_write_b32 a211, 0                                // 0000000063C8: D3D940D3 18000080
	v_mov_b32_e32 v203, 0                                      // 0000000063D0: 7F960280
	v_accvgpr_write_b32 a212, 0                                // 0000000063D4: D3D940D4 18000080
	v_mov_b32_e32 v204, 0                                      // 0000000063DC: 7F980280
	v_accvgpr_write_b32 a213, 0                                // 0000000063E0: D3D940D5 18000080
	v_mov_b32_e32 v205, 0                                      // 0000000063E8: 7F9A0280
	v_accvgpr_write_b32 a214, 0                                // 0000000063EC: D3D940D6 18000080
	v_mov_b32_e32 v206, 0                                      // 0000000063F4: 7F9C0280
	v_accvgpr_write_b32 a215, 0                                // 0000000063F8: D3D940D7 18000080
	v_mov_b32_e32 v207, 0                                      // 000000006400: 7F9E0280
	v_accvgpr_write_b32 a216, 0                                // 000000006404: D3D940D8 18000080
	v_mov_b32_e32 v208, 0                                      // 00000000640C: 7FA00280
	v_accvgpr_write_b32 a217, 0                                // 000000006410: D3D940D9 18000080
	v_mov_b32_e32 v209, 0                                      // 000000006418: 7FA20280
	v_accvgpr_write_b32 a218, 0                                // 00000000641C: D3D940DA 18000080
	v_mov_b32_e32 v210, 0                                      // 000000006424: 7FA40280
	v_accvgpr_write_b32 a219, 0                                // 000000006428: D3D940DB 18000080
	v_mov_b32_e32 v211, 0                                      // 000000006430: 7FA60280
	v_accvgpr_write_b32 a220, 0                                // 000000006434: D3D940DC 18000080
	v_mov_b32_e32 v212, 0                                      // 00000000643C: 7FA80280
	v_accvgpr_write_b32 a221, 0                                // 000000006440: D3D940DD 18000080
	v_mov_b32_e32 v213, 0                                      // 000000006448: 7FAA0280
	v_accvgpr_write_b32 a222, 0                                // 00000000644C: D3D940DE 18000080
	v_mov_b32_e32 v214, 0                                      // 000000006454: 7FAC0280
	v_accvgpr_write_b32 a223, 0                                // 000000006458: D3D940DF 18000080
	v_mov_b32_e32 v215, 0                                      // 000000006460: 7FAE0280
	v_accvgpr_write_b32 a224, 0                                // 000000006464: D3D940E0 18000080
	v_mov_b32_e32 v216, 0                                      // 00000000646C: 7FB00280
	v_accvgpr_write_b32 a225, 0                                // 000000006470: D3D940E1 18000080
	v_mov_b32_e32 v217, 0                                      // 000000006478: 7FB20280
	v_accvgpr_write_b32 a226, 0                                // 00000000647C: D3D940E2 18000080
	v_mov_b32_e32 v218, 0                                      // 000000006484: 7FB40280
	v_accvgpr_write_b32 a227, 0                                // 000000006488: D3D940E3 18000080
	v_mov_b32_e32 v219, 0                                      // 000000006490: 7FB60280
	v_accvgpr_write_b32 a228, 0                                // 000000006494: D3D940E4 18000080
	v_mov_b32_e32 v220, 0                                      // 00000000649C: 7FB80280
	v_accvgpr_write_b32 a229, 0                                // 0000000064A0: D3D940E5 18000080
	v_mov_b32_e32 v221, 0                                      // 0000000064A8: 7FBA0280
	v_accvgpr_write_b32 a230, 0                                // 0000000064AC: D3D940E6 18000080
	v_mov_b32_e32 v222, 0                                      // 0000000064B4: 7FBC0280
	v_accvgpr_write_b32 a231, 0                                // 0000000064B8: D3D940E7 18000080
	v_mov_b32_e32 v223, 0                                      // 0000000064C0: 7FBE0280
	v_accvgpr_write_b32 a232, 0                                // 0000000064C4: D3D940E8 18000080
	v_mov_b32_e32 v224, 0                                      // 0000000064CC: 7FC00280
	v_accvgpr_write_b32 a233, 0                                // 0000000064D0: D3D940E9 18000080
	v_mov_b32_e32 v225, 0                                      // 0000000064D8: 7FC20280
	v_accvgpr_write_b32 a234, 0                                // 0000000064DC: D3D940EA 18000080
	v_mov_b32_e32 v226, 0                                      // 0000000064E4: 7FC40280
	v_accvgpr_write_b32 a235, 0                                // 0000000064E8: D3D940EB 18000080
	v_mov_b32_e32 v227, 0                                      // 0000000064F0: 7FC60280
	v_accvgpr_write_b32 a236, 0                                // 0000000064F4: D3D940EC 18000080
	v_mov_b32_e32 v228, 0                                      // 0000000064FC: 7FC80280
	v_accvgpr_write_b32 a237, 0                                // 000000006500: D3D940ED 18000080
	v_mov_b32_e32 v229, 0                                      // 000000006508: 7FCA0280
	v_accvgpr_write_b32 a238, 0                                // 00000000650C: D3D940EE 18000080
	v_mov_b32_e32 v230, 0                                      // 000000006514: 7FCC0280
	v_accvgpr_write_b32 a239, 0                                // 000000006518: D3D940EF 18000080
	v_mov_b32_e32 v231, 0                                      // 000000006520: 7FCE0280
	v_accvgpr_write_b32 a240, 0                                // 000000006524: D3D940F0 18000080
	v_mov_b32_e32 v232, 0                                      // 00000000652C: 7FD00280
	v_accvgpr_write_b32 a241, 0                                // 000000006530: D3D940F1 18000080
	v_mov_b32_e32 v233, 0                                      // 000000006538: 7FD20280
	v_accvgpr_write_b32 a242, 0                                // 00000000653C: D3D940F2 18000080
	v_mov_b32_e32 v234, 0                                      // 000000006544: 7FD40280
	v_accvgpr_write_b32 a243, 0                                // 000000006548: D3D940F3 18000080
	v_mov_b32_e32 v235, 0                                      // 000000006550: 7FD60280
	v_accvgpr_write_b32 a244, 0                                // 000000006554: D3D940F4 18000080
	v_mov_b32_e32 v236, 0                                      // 00000000655C: 7FD80280
	v_accvgpr_write_b32 a245, 0                                // 000000006560: D3D940F5 18000080
	v_mov_b32_e32 v237, 0                                      // 000000006568: 7FDA0280
	v_accvgpr_write_b32 a246, 0                                // 00000000656C: D3D940F6 18000080
	v_mov_b32_e32 v238, 0                                      // 000000006574: 7FDC0280
	v_accvgpr_write_b32 a247, 0                                // 000000006578: D3D940F7 18000080
	v_mov_b32_e32 v239, 0                                      // 000000006580: 7FDE0280
	v_accvgpr_write_b32 a248, 0                                // 000000006584: D3D940F8 18000080
	v_mov_b32_e32 v240, 0                                      // 00000000658C: 7FE00280
	v_accvgpr_write_b32 a249, 0                                // 000000006590: D3D940F9 18000080
	v_mov_b32_e32 v241, 0                                      // 000000006598: 7FE20280
	v_accvgpr_write_b32 a250, 0                                // 00000000659C: D3D940FA 18000080
	v_mov_b32_e32 v242, 0                                      // 0000000065A4: 7FE40280
	v_accvgpr_write_b32 a251, 0                                // 0000000065A8: D3D940FB 18000080
	v_mov_b32_e32 v243, 0                                      // 0000000065B0: 7FE60280
	v_accvgpr_write_b32 a252, 0                                // 0000000065B4: D3D940FC 18000080
	v_mov_b32_e32 v244, 0                                      // 0000000065BC: 7FE80280
	v_accvgpr_write_b32 a253, 0                                // 0000000065C0: D3D940FD 18000080
	v_mov_b32_e32 v245, 0                                      // 0000000065C8: 7FEA0280
	v_accvgpr_write_b32 a254, 0                                // 0000000065CC: D3D940FE 18000080
	v_mov_b32_e32 v246, 0                                      // 0000000065D4: 7FEC0280
	v_accvgpr_write_b32 a255, 0                                // 0000000065D8: D3D940FF 18000080
	v_mov_b32_e32 v247, 0                                      // 0000000065E0: 7FEE0280
	v_mov_b32_e32 v136, 0                                      // 0000000065E4: 7F100280
	v_mov_b32_e32 v137, 0                                      // 0000000065E8: 7F120280
	v_mov_b32_e32 v138, 0                                      // 0000000065EC: 7F140280
	v_mov_b32_e32 v139, 0                                      // 0000000065F0: 7F160280
	v_mov_b32_e32 v140, 0                                      // 0000000065F4: 7F180280
	v_mov_b32_e32 v141, 0                                      // 0000000065F8: 7F1A0280
	v_mov_b32_e32 v142, 0                                      // 0000000065FC: 7F1C0280
	v_mov_b32_e32 v143, 0                                      // 000000006600: 7F1E0280
	v_mov_b32_e32 v128, 0                                      // 000000006604: 7F000280
	v_mov_b32_e32 v129, 0                                      // 000000006608: 7F020280
	v_mov_b32_e32 v130, 0                                      // 00000000660C: 7F040280
	v_mov_b32_e32 v131, 0                                      // 000000006610: 7F060280
	v_mov_b32_e32 v132, 0                                      // 000000006614: 7F080280
	v_mov_b32_e32 v133, 0                                      // 000000006618: 7F0A0280
	v_mov_b32_e32 v134, 0                                      // 00000000661C: 7F0C0280
	v_mov_b32_e32 v135, 0                                      // 000000006620: 7F0E0280
	s_waitcnt lgkmcnt(0)                                       // 000000006624: BF8CC07F
	s_barrier                                                  // 000000006628: BF8A0000
	v_mov_b32_e32 v32, 0                                       // 00000000662C: 7E400280
	s_mov_b64 exec, s[90:91]                                   // 000000006630: BEFE015A
	buffer_load_dword v32, v1, s[8:11], 0 idxen                // 000000006634: E0502000 80022001
	s_mov_b32 exec_lo, -1                                      // 00000000663C: BEFE00C1
	s_mov_b32 exec_hi, -1                                      // 000000006640: BEFF00C1
	v_mov_b32_e32 v33, 0                                       // 000000006644: 7E420280
	s_mov_b64 exec, s[90:91]                                   // 000000006648: BEFE015A
	buffer_load_dword v33, v2, s[8:11], 0 idxen                // 00000000664C: E0502000 80022102
	s_mov_b32 exec_lo, -1                                      // 000000006654: BEFE00C1
	s_mov_b32 exec_hi, -1                                      // 000000006658: BEFF00C1
	v_mov_b32_e32 v34, 0                                       // 00000000665C: 7E440280
	s_mov_b64 exec, s[90:91]                                   // 000000006660: BEFE015A
	buffer_load_dword v34, v3, s[8:11], 0 idxen                // 000000006664: E0502000 80022203
	s_mov_b32 exec_lo, -1                                      // 00000000666C: BEFE00C1
	s_mov_b32 exec_hi, -1                                      // 000000006670: BEFF00C1
	v_mov_b32_e32 v35, 0                                       // 000000006674: 7E460280
	s_mov_b64 exec, s[90:91]                                   // 000000006678: BEFE015A
	buffer_load_dword v35, v4, s[8:11], 0 idxen                // 00000000667C: E0502000 80022304
	s_mov_b32 exec_lo, -1                                      // 000000006684: BEFE00C1
	s_mov_b32 exec_hi, -1                                      // 000000006688: BEFF00C1
	v_mov_b32_e32 v40, 0                                       // 00000000668C: 7E500280
	s_mov_b64 exec, s[90:91]                                   // 000000006690: BEFE015A
	buffer_load_dword v40, v252, s[20:23], 0 idxen             // 000000006694: E0502000 800528FC
	s_mov_b32 exec_lo, -1                                      // 00000000669C: BEFE00C1
	s_mov_b32 exec_hi, -1                                      // 0000000066A0: BEFF00C1
	v_mov_b32_e32 v41, 0                                       // 0000000066A4: 7E520280
	s_mov_b64 exec, s[90:91]                                   // 0000000066A8: BEFE015A
	buffer_load_dword v41, v253, s[20:23], 0 idxen             // 0000000066AC: E0502000 800529FD
	s_mov_b32 exec_lo, -1                                      // 0000000066B4: BEFE00C1
	s_mov_b32 exec_hi, -1                                      // 0000000066B8: BEFF00C1
	v_mov_b32_e32 v42, 0                                       // 0000000066BC: 7E540280
	s_mov_b64 exec, s[90:91]                                   // 0000000066C0: BEFE015A
	buffer_load_dword v42, v254, s[20:23], 0 idxen             // 0000000066C4: E0502000 80052AFE
	s_mov_b32 exec_lo, -1                                      // 0000000066CC: BEFE00C1
	s_mov_b32 exec_hi, -1                                      // 0000000066D0: BEFF00C1
	v_mov_b32_e32 v43, 0                                       // 0000000066D4: 7E560280
	s_mov_b64 exec, s[90:91]                                   // 0000000066D8: BEFE015A
	buffer_load_dword v43, v255, s[20:23], 0 idxen             // 0000000066DC: E0502000 80052BFF
	s_mov_b32 exec_lo, -1                                      // 0000000066E4: BEFE00C1
	s_mov_b32 exec_hi, -1                                      // 0000000066E8: BEFF00C1
	buffer_load_dword v9, s[24:27], 0 idxen lds                // 0000000066EC: E0512000 80060009
	s_mov_b32 m0, s81                                          // 0000000066F4: BEFC0051
	v_add_u32_e32 v9, s69, v9                                  // 0000000066F8: 68121245
	v_add_u32_e32 v1, s68, v1                                  // 0000000066FC: 68020244
	v_add_u32_e32 v2, s68, v2                                  // 000000006700: 68040444
	v_add_u32_e32 v3, s68, v3                                  // 000000006704: 68060644
	;; [unrolled: 1-line block ×3, first 2 shown]
	v_add_u32_e32 v252, s99, v252                              // 00000000670C: 69F9F863
	v_add_u32_e32 v253, s99, v253                              // 000000006710: 69FBFA63
	v_add_u32_e32 v254, s99, v254                              // 000000006714: 69FDFC63
	v_add_u32_e32 v255, s99, v255                              // 000000006718: 69FFFE63
	v_mul_f32_e32 v124, s48, v124                              // 00000000671C: 0AF8F830
	v_perm_b32 v84, v37, v36, s63                              // 000000006720: D1ED0054 00FE4925
	v_perm_b32 v85, v37, v36, s64                              // 000000006728: D1ED0055 01024925
	v_perm_b32 v86, v39, v38, s63                              // 000000006730: D1ED0056 00FE4D27
	v_perm_b32 v87, v39, v38, s64                              // 000000006738: D1ED0057 01024D27
	v_perm_b32 v88, v45, v44, s63                              // 000000006740: D1ED0058 00FE592D
	v_perm_b32 v89, v45, v44, s64                              // 000000006748: D1ED0059 0102592D
	v_perm_b32 v90, v47, v46, s63                              // 000000006750: D1ED005A 00FE5D2F
	v_perm_b32 v91, v47, v46, s64                              // 000000006758: D1ED005B 01025D2F
	v_mov_b32_dpp v127, v124 quad_perm:[3,3,3,3] row_mask:0xf bank_mask:0xf// 000000006760: 7EFE02FA FF00FF7C
	v_mov_b32_dpp v126, v124 quad_perm:[2,2,2,2] row_mask:0xf bank_mask:0xf// 000000006768: 7EFC02FA FF00AA7C
	v_mov_b32_dpp v125, v124 quad_perm:[1,1,1,1] row_mask:0xf bank_mask:0xf// 000000006770: 7EFA02FA FF00557C
	v_mov_b32_dpp v124, v124 quad_perm:[0,0,0,0] row_mask:0xf bank_mask:0xf// 000000006778: 7EF802FA FF00007C
	s_waitcnt vmcnt(9)                                         // 000000006780: BF8C0F79
	s_barrier                                                  // 000000006784: BF8A0000
	s_cmp_lt_i32 s46, 2                                        // 000000006788: BF04822E
	s_cbranch_scc0 label_11DE                                  // 00000000678C: BF840770
	s_nop 0                                                    // 000000006790: BF800000
	s_nop 0                                                    // 000000006794: BF800000

0000000000006798 <label_0A66>:
	s_waitcnt lgkmcnt(0)                                       // 000000006798: BF8CC07F
	s_barrier                                                  // 00000000679C: BF8A0000
	v_mfma_f32_16x16x16_bf16 v[48:51], a[144:145], a[0:1], 0   // 0000000067A0: D3E10030 1A020190
	ds_write_b32 v11, v44 offset:8704                          // 0000000067A8: D81A2200 00002C0B
	ds_write_b32 v11, v45 offset:9760                          // 0000000067B0: D81A2620 00002D0B
	v_mfma_f32_16x16x16_bf16 v[48:51], a[146:147], a[2:3], v[48:51]// 0000000067B8: D3E10030 1CC20592
	v_mul_f32_e32 v128, s47, v128                              // 0000000067C0: 0B01002F
	v_mul_f32_e32 v129, s47, v129                              // 0000000067C4: 0B03022F
	v_mfma_f32_16x16x16_bf16 v[48:51], a[148:149], a[4:5], v[48:51]// 0000000067C8: D3E10030 1CC20994
	ds_write_b32 v11, v46 offset:8832                          // 0000000067D0: D81A2280 00002E0B
	ds_write_b32 v11, v47 offset:9888                          // 0000000067D8: D81A26A0 00002F0B
	v_mfma_f32_16x16x16_bf16 v[48:51], a[150:151], a[6:7], v[48:51]// 0000000067E0: D3E10030 1CC20D96
	v_mul_f32_e32 v130, s47, v130                              // 0000000067E8: 0B05042F
	v_mul_f32_e32 v131, s47, v131                              // 0000000067EC: 0B07062F
	v_mfma_f32_16x16x16_bf16 v[48:51], a[152:153], a[8:9], v[48:51]// 0000000067F0: D3E10030 1CC21198
	ds_write_b64 v20, v[128:129] offset:24320                  // 0000000067F8: D89A5F00 00008014
	v_mfma_f32_16x16x16_bf16 v[48:51], a[154:155], a[10:11], v[48:51]// 000000006800: D3E10030 1CC2159A
	v_mul_f32_e32 v132, s47, v132                              // 000000006808: 0B09082F
	v_mul_f32_e32 v133, s47, v133                              // 00000000680C: 0B0B0A2F
	v_mfma_f32_16x16x16_bf16 v[48:51], a[156:157], a[12:13], v[48:51]// 000000006810: D3E10030 1CC2199C
	ds_write_b64 v20, v[130:131] offset:24832                  // 000000006818: D89A6100 00008214
	v_mfma_f32_16x16x16_bf16 v[48:51], a[158:159], a[14:15], v[48:51]// 000000006820: D3E10030 1CC21D9E
	v_mul_f32_e32 v134, s47, v134                              // 000000006828: 0B0D0C2F
	v_mul_f32_e32 v135, s47, v135                              // 00000000682C: 0B0F0E2F
	v_mfma_f32_16x16x16_bf16 v[52:55], a[144:145], a[16:17], 0 // 000000006830: D3E10034 1A022190
	ds_write_b64 v20, v[132:133] offset:25344                  // 000000006838: D89A6300 00008414
	v_mfma_f32_16x16x16_bf16 v[52:55], a[146:147], a[18:19], v[52:55]// 000000006840: D3E10034 1CD22592
	buffer_atomic_add_f32 v140, v7, s[32:35], 0 offen offset:256// 000000006848: E1341100 80088C07
	v_mfma_f32_16x16x16_bf16 v[52:55], a[148:149], a[20:21], v[52:55]// 000000006850: D3E10034 1CD22994
	ds_write_b64 v20, v[134:135] offset:25856                  // 000000006858: D89A6500 00008614
	v_mfma_f32_16x16x16_bf16 v[52:55], a[150:151], a[22:23], v[52:55]// 000000006860: D3E10034 1CD22D96
	v_mfma_f32_16x16x16_bf16 v[52:55], a[152:153], a[24:25], v[52:55]// 000000006868: D3E10034 1CD23198
	ds_read_b128 v[108:111], v12 offset:13056                  // 000000006870: D9FE3300 6C00000C
	ds_write_b32 v11, v36                                      // 000000006878: D81A0000 0000240B
	v_mfma_f32_16x16x16_bf16 v[52:55], a[154:155], a[26:27], v[52:55]// 000000006880: D3E10034 1CD2359A
	buffer_atomic_add_f32 v141, v8, s[32:35], 0 offen offset:256// 000000006888: E1341100 80088D08
	v_mfma_f32_16x16x16_bf16 v[52:55], a[156:157], a[28:29], v[52:55]// 000000006890: D3E10034 1CD2399C
	v_mfma_f32_16x16x16_bf16 v[52:55], a[158:159], a[30:31], v[52:55]// 000000006898: D3E10034 1CD23D9E
	ds_read_b128 v[112:115], v12 offset:13568                  // 0000000068A0: D9FE3500 7000000C
	ds_write_b32 v11, v37 offset:1056                          // 0000000068A8: D81A0420 0000250B
	v_mfma_f32_16x16x16_bf16 v[56:59], a[144:145], a[32:33], 0 // 0000000068B0: D3E10038 1A024190
	buffer_atomic_add_f32 v142, v7, s[32:35], 0 offen offset:384// 0000000068B8: E1341180 80088E07
	v_mfma_f32_16x16x16_bf16 v[56:59], a[146:147], a[34:35], v[56:59]// 0000000068C0: D3E10038 1CE24592
	v_mfma_f32_16x16x16_bf16 v[56:59], a[148:149], a[36:37], v[56:59]// 0000000068C8: D3E10038 1CE24994
	ds_read_b128 v[116:119], v12 offset:15232                  // 0000000068D0: D9FE3B80 7400000C
	ds_write_b32 v11, v38 offset:128                           // 0000000068D8: D81A0080 0000260B
	v_mfma_f32_16x16x16_bf16 v[56:59], a[150:151], a[38:39], v[56:59]// 0000000068E0: D3E10038 1CE24D96
	v_mfma_f32_16x16x16_bf16 v[56:59], a[152:153], a[40:41], v[56:59]// 0000000068E8: D3E10038 1CE25198
	buffer_atomic_add_f32 v143, v8, s[32:35], 0 offen offset:384// 0000000068F0: E1341180 80088F08
	v_mfma_f32_16x16x16_bf16 v[56:59], a[154:155], a[42:43], v[56:59]// 0000000068F8: D3E10038 1CE2559A
	ds_read_b128 v[120:123], v12 offset:15744                  // 000000006900: D9FE3D80 7800000C
	ds_write_b32 v11, v39 offset:1184                          // 000000006908: D81A04A0 0000270B
	v_mfma_f32_16x16x16_bf16 v[56:59], a[156:157], a[44:45], v[56:59]// 000000006910: D3E10038 1CE2599C
	v_mfma_f32_16x16x16_bf16 v[56:59], a[158:159], a[46:47], v[56:59]// 000000006918: D3E10038 1CE25D9E
	s_cmp_lt_i32 s74, 12                                       // 000000006920: BF048C4A
	s_cbranch_scc0 label_0B3F                                  // 000000006924: BF840075
	s_mov_b32 s60, 0xffe0fffe                                  // 000000006928: BEBC00FF FFE0FFFE
	s_mov_b32 s61, 0xe000fe00                                  // 000000006930: BEBD00FF E000FE00
	s_nop 0                                                    // 000000006938: BF800000
	s_add_u32 s62, 0, s46                                      // 00000000693C: 803E2E80
	s_cmp_lt_i32 s74, s62                                      // 000000006940: BF043E4A
	s_cbranch_scc1 label_0AFA                                  // 000000006944: BF850028
	s_cmp_eq_i32 s74, s62                                      // 000000006948: BF003E4A
	s_cbranch_scc1 label_0ADF                                  // 00000000694C: BF85000B
	s_add_u32 s62, 4, s46                                      // 000000006950: 803E2E84
	s_cmp_lt_i32 s74, s62                                      // 000000006954: BF043E4A
	s_cbranch_scc1 label_0B1A                                  // 000000006958: BF850043
	s_cmp_eq_i32 s74, s62                                      // 00000000695C: BF003E4A
	s_cbranch_scc1 label_0AFF                                  // 000000006960: BF850026
	s_add_u32 s62, 8, s46                                      // 000000006964: 803E2E88
	s_cmp_lt_i32 s74, s62                                      // 000000006968: BF043E4A
	s_cbranch_scc1 label_0B3A                                  // 00000000696C: BF85005E
	s_cmp_eq_i32 s74, s62                                      // 000000006970: BF003E4A
	s_cbranch_scc1 label_0B1F                                  // 000000006974: BF850041
	s_branch label_0B3F                                        // 000000006978: BF820060

000000000000697c <label_0ADF>:
	v_cndmask_b32_e64 v48, v48, v151, s[60:61]                 // 00000000697C: D1000030 00F32F30
	s_lshl_b32 s60, s60, 1                                     // 000000006984: 8E3C813C
	s_lshl_b32 s61, s61, 1                                     // 000000006988: 8E3D813D
	s_and_b32 s60, 0xfffeffff, s60                             // 00000000698C: 863C3CFF FFFEFFFF
	s_and_b32 s61, 0xfffeffff, s61                             // 000000006994: 863D3DFF FFFEFFFF
	v_cndmask_b32_e64 v49, v49, v151, s[60:61]                 // 00000000699C: D1000031 00F32F31
	s_lshl_b32 s60, s60, 1                                     // 0000000069A4: 8E3C813C
	s_lshl_b32 s61, s61, 1                                     // 0000000069A8: 8E3D813D
	s_and_b32 s60, 0xfffeffff, s60                             // 0000000069AC: 863C3CFF FFFEFFFF
	s_and_b32 s61, 0xfffeffff, s61                             // 0000000069B4: 863D3DFF FFFEFFFF
	v_cndmask_b32_e64 v50, v50, v151, s[60:61]                 // 0000000069BC: D1000032 00F32F32
	s_lshl_b32 s60, s60, 1                                     // 0000000069C4: 8E3C813C
	s_lshl_b32 s61, s61, 1                                     // 0000000069C8: 8E3D813D
	s_and_b32 s60, 0xfffeffff, s60                             // 0000000069CC: 863C3CFF FFFEFFFF
	s_and_b32 s61, 0xfffeffff, s61                             // 0000000069D4: 863D3DFF FFFEFFFF
	v_cndmask_b32_e64 v51, v51, v151, s[60:61]                 // 0000000069DC: D1000033 00F32F33
	s_branch label_0B1A                                        // 0000000069E4: BF820020

00000000000069e8 <label_0AFA>:
	v_mov_b32_e32 v48, v151                                    // 0000000069E8: 7E600397
	v_mov_b32_e32 v49, v151                                    // 0000000069EC: 7E620397
	v_mov_b32_e32 v50, v151                                    // 0000000069F0: 7E640397
	v_mov_b32_e32 v51, v151                                    // 0000000069F4: 7E660397
	s_branch label_0B1A                                        // 0000000069F8: BF82001B

00000000000069fc <label_0AFF>:
	v_cndmask_b32_e64 v52, v52, v151, s[60:61]                 // 0000000069FC: D1000034 00F32F34
	s_lshl_b32 s60, s60, 1                                     // 000000006A04: 8E3C813C
	s_lshl_b32 s61, s61, 1                                     // 000000006A08: 8E3D813D
	s_and_b32 s60, 0xfffeffff, s60                             // 000000006A0C: 863C3CFF FFFEFFFF
	s_and_b32 s61, 0xfffeffff, s61                             // 000000006A14: 863D3DFF FFFEFFFF
	v_cndmask_b32_e64 v53, v53, v151, s[60:61]                 // 000000006A1C: D1000035 00F32F35
	s_lshl_b32 s60, s60, 1                                     // 000000006A24: 8E3C813C
	s_lshl_b32 s61, s61, 1                                     // 000000006A28: 8E3D813D
	s_and_b32 s60, 0xfffeffff, s60                             // 000000006A2C: 863C3CFF FFFEFFFF
	s_and_b32 s61, 0xfffeffff, s61                             // 000000006A34: 863D3DFF FFFEFFFF
	v_cndmask_b32_e64 v54, v54, v151, s[60:61]                 // 000000006A3C: D1000036 00F32F36
	s_lshl_b32 s60, s60, 1                                     // 000000006A44: 8E3C813C
	s_lshl_b32 s61, s61, 1                                     // 000000006A48: 8E3D813D
	s_and_b32 s60, 0xfffeffff, s60                             // 000000006A4C: 863C3CFF FFFEFFFF
	s_and_b32 s61, 0xfffeffff, s61                             // 000000006A54: 863D3DFF FFFEFFFF
	v_cndmask_b32_e64 v55, v55, v151, s[60:61]                 // 000000006A5C: D1000037 00F32F37
	s_branch label_0B3A                                        // 000000006A64: BF820020

0000000000006a68 <label_0B1A>:
	v_mov_b32_e32 v52, v151                                    // 000000006A68: 7E680397
	v_mov_b32_e32 v53, v151                                    // 000000006A6C: 7E6A0397
	v_mov_b32_e32 v54, v151                                    // 000000006A70: 7E6C0397
	v_mov_b32_e32 v55, v151                                    // 000000006A74: 7E6E0397
	s_branch label_0B3A                                        // 000000006A78: BF82001B

0000000000006a7c <label_0B1F>:
	v_cndmask_b32_e64 v56, v56, v151, s[60:61]                 // 000000006A7C: D1000038 00F32F38
	s_lshl_b32 s60, s60, 1                                     // 000000006A84: 8E3C813C
	s_lshl_b32 s61, s61, 1                                     // 000000006A88: 8E3D813D
	s_and_b32 s60, 0xfffeffff, s60                             // 000000006A8C: 863C3CFF FFFEFFFF
	s_and_b32 s61, 0xfffeffff, s61                             // 000000006A94: 863D3DFF FFFEFFFF
	v_cndmask_b32_e64 v57, v57, v151, s[60:61]                 // 000000006A9C: D1000039 00F32F39
	s_lshl_b32 s60, s60, 1                                     // 000000006AA4: 8E3C813C
	s_lshl_b32 s61, s61, 1                                     // 000000006AA8: 8E3D813D
	s_and_b32 s60, 0xfffeffff, s60                             // 000000006AAC: 863C3CFF FFFEFFFF
	s_and_b32 s61, 0xfffeffff, s61                             // 000000006AB4: 863D3DFF FFFEFFFF
	v_cndmask_b32_e64 v58, v58, v151, s[60:61]                 // 000000006ABC: D100003A 00F32F3A
	s_lshl_b32 s60, s60, 1                                     // 000000006AC4: 8E3C813C
	s_lshl_b32 s61, s61, 1                                     // 000000006AC8: 8E3D813D
	s_and_b32 s60, 0xfffeffff, s60                             // 000000006ACC: 863C3CFF FFFEFFFF
	s_and_b32 s61, 0xfffeffff, s61                             // 000000006AD4: 863D3DFF FFFEFFFF
	v_cndmask_b32_e64 v59, v59, v151, s[60:61]                 // 000000006ADC: D100003B 00F32F3B
	s_branch label_0B3F                                        // 000000006AE4: BF820005

0000000000006ae8 <label_0B3A>:
	v_mov_b32_e32 v56, v151                                    // 000000006AE8: 7E700397
	v_mov_b32_e32 v57, v151                                    // 000000006AEC: 7E720397
	v_mov_b32_e32 v58, v151                                    // 000000006AF0: 7E740397
	v_mov_b32_e32 v59, v151                                    // 000000006AF4: 7E760397
	s_branch label_0B3F                                        // 000000006AF8: BF820000

0000000000006afc <label_0B3F>:
	s_cmp_lt_i32 s100, 0xc0                                    // 000000006AFC: BF04FF64 000000C0
	s_cbranch_scc0 label_0B94                                  // 000000006B04: BF84004D
	s_cmp_le_i32 s100, 64                                      // 000000006B08: BF05C064
	s_cbranch_scc1 label_0B4B                                  // 000000006B0C: BF850007
	s_cmp_le_i32 s100, 0x80                                    // 000000006B10: BF05FF64 00000080
	s_cbranch_scc1 label_0B63                                  // 000000006B18: BF850017
	s_cmp_lt_i32 s100, 0xc0                                    // 000000006B1C: BF04FF64 000000C0
	s_cbranch_scc1 label_0B7B                                  // 000000006B24: BF85002C
	s_branch label_0B94                                        // 000000006B28: BF820044

0000000000006b2c <label_0B4B>:
	s_mov_b32 s60, 0                                           // 000000006B2C: BEBC0080
	v_and_b32_e32 v28, 15, v0                                  // 000000006B30: 2638008F
	v_add_u32_e64 v28, v28, s60                                // 000000006B34: D134001C 0000791C
	v_mul_i32_i24_e64 v29, s46, 16                             // 000000006B3C: D106001D 0001202E
	v_add_u32_e32 v28, v28, v29                                // 000000006B44: 68383B1C
	v_cmp_lt_u32_e64 s[60:61], v28, s100                       // 000000006B48: D0C9003C 0000C91C
	s_nop 1                                                    // 000000006B50: BF800001
	v_cndmask_b32_e64 v48, v151, v48, s[60:61]                 // 000000006B54: D1000030 00F26197
	v_cndmask_b32_e64 v49, v151, v49, s[60:61]                 // 000000006B5C: D1000031 00F26397
	v_cndmask_b32_e64 v50, v151, v50, s[60:61]                 // 000000006B64: D1000032 00F26597
	v_cndmask_b32_e64 v51, v151, v51, s[60:61]                 // 000000006B6C: D1000033 00F26797
	s_branch label_0B76                                        // 000000006B74: BF820013

0000000000006b78 <label_0B63>:
	s_mov_b32 s60, 64                                          // 000000006B78: BEBC00C0
	v_and_b32_e32 v28, 15, v0                                  // 000000006B7C: 2638008F
	v_add_u32_e64 v28, v28, s60                                // 000000006B80: D134001C 0000791C
	v_mul_i32_i24_e64 v29, s46, 16                             // 000000006B88: D106001D 0001202E
	v_add_u32_e32 v28, v28, v29                                // 000000006B90: 68383B1C
	v_cmp_lt_u32_e64 s[60:61], v28, s100                       // 000000006B94: D0C9003C 0000C91C
	s_nop 1                                                    // 000000006B9C: BF800001
	v_cndmask_b32_e64 v52, v151, v52, s[60:61]                 // 000000006BA0: D1000034 00F26997
	v_cndmask_b32_e64 v53, v151, v53, s[60:61]                 // 000000006BA8: D1000035 00F26B97
	v_cndmask_b32_e64 v54, v151, v54, s[60:61]                 // 000000006BB0: D1000036 00F26D97
	v_cndmask_b32_e64 v55, v151, v55, s[60:61]                 // 000000006BB8: D1000037 00F26F97
	s_branch label_0B8F                                        // 000000006BC0: BF820019

0000000000006bc4 <label_0B76>:
	v_mov_b32_e32 v52, v151                                    // 000000006BC4: 7E680397
	v_mov_b32_e32 v53, v151                                    // 000000006BC8: 7E6A0397
	v_mov_b32_e32 v54, v151                                    // 000000006BCC: 7E6C0397
	v_mov_b32_e32 v55, v151                                    // 000000006BD0: 7E6E0397
	s_branch label_0B8F                                        // 000000006BD4: BF820014

0000000000006bd8 <label_0B7B>:
	s_mov_b32 s60, 0x80                                        // 000000006BD8: BEBC00FF 00000080
	v_and_b32_e32 v28, 15, v0                                  // 000000006BE0: 2638008F
	v_add_u32_e64 v28, v28, s60                                // 000000006BE4: D134001C 0000791C
	v_mul_i32_i24_e64 v29, s46, 16                             // 000000006BEC: D106001D 0001202E
	v_add_u32_e32 v28, v28, v29                                // 000000006BF4: 68383B1C
	v_cmp_lt_u32_e64 s[60:61], v28, s100                       // 000000006BF8: D0C9003C 0000C91C
	s_nop 1                                                    // 000000006C00: BF800001
	v_cndmask_b32_e64 v56, v151, v56, s[60:61]                 // 000000006C04: D1000038 00F27197
	v_cndmask_b32_e64 v57, v151, v57, s[60:61]                 // 000000006C0C: D1000039 00F27397
	v_cndmask_b32_e64 v58, v151, v58, s[60:61]                 // 000000006C14: D100003A 00F27597
	v_cndmask_b32_e64 v59, v151, v59, s[60:61]                 // 000000006C1C: D100003B 00F27797
	s_branch label_0B94                                        // 000000006C24: BF820005

0000000000006c28 <label_0B8F>:
	v_mov_b32_e32 v56, v151                                    // 000000006C28: 7E700397
	v_mov_b32_e32 v57, v151                                    // 000000006C2C: 7E720397
	v_mov_b32_e32 v58, v151                                    // 000000006C30: 7E740397
	v_mov_b32_e32 v59, v151                                    // 000000006C34: 7E760397
	s_branch label_0B94                                        // 000000006C38: BF820000

0000000000006c3c <label_0B94>:
	s_addk_i32 s74, 0x1                                        // 000000006C3C: B74A0001
	s_waitcnt lgkmcnt(8)                                       // 000000006C40: BF8CC87F
	s_barrier                                                  // 000000006C44: BF8A0000
	v_mfma_f32_16x16x16_bf16 v[72:75], v[92:93], a[96:97], 0   // 000000006C48: D3E10048 1202C15C
	ds_read_b128 a[144:147], v12 offset:4352                   // 000000006C50: DBFE1100 9000000C
	ds_read_b128 a[148:151], v12 offset:4864                   // 000000006C58: DBFE1300 9400000C
	v_mfma_f32_16x16x16_bf16 v[72:75], v[94:95], a[98:99], v[72:75]// 000000006C60: D3E10048 1522C55E
	v_fma_f32 v48, v48, s57, -v124                             // 000000006C68: D1CB0030 85F07330
	v_fma_f32 v49, v49, s57, -v125                             // 000000006C70: D1CB0031 85F47331
	v_fma_f32 v50, v50, s57, -v126                             // 000000006C78: D1CB0032 85F87332
	v_mfma_f32_16x16x16_bf16 v[72:75], v[96:97], a[100:101], v[72:75]// 000000006C80: D3E10048 1522C960
	v_fma_f32 v51, v51, s57, -v127                             // 000000006C88: D1CB0033 85FC7333
	v_fma_f32 v52, v52, s57, -v124                             // 000000006C90: D1CB0034 85F07334
	v_fma_f32 v53, v53, s57, -v125                             // 000000006C98: D1CB0035 85F47335
	v_mfma_f32_16x16x16_bf16 v[72:75], v[98:99], a[102:103], v[72:75]// 000000006CA0: D3E10048 1522CD62
	v_fma_f32 v54, v54, s57, -v126                             // 000000006CA8: D1CB0036 85F87336
	v_fma_f32 v55, v55, s57, -v127                             // 000000006CB0: D1CB0037 85FC7337
	v_fma_f32 v56, v56, s57, -v124                             // 000000006CB8: D1CB0038 85F07338
	v_mfma_f32_16x16x16_bf16 v[72:75], v[100:101], a[104:105], v[72:75]// 000000006CC0: D3E10048 1522D164
	ds_read_b128 a[152:155], v12 offset:6528                   // 000000006CC8: DBFE1980 9800000C
	ds_read_b128 a[156:159], v12 offset:7040                   // 000000006CD0: DBFE1B80 9C00000C
	v_mfma_f32_16x16x16_bf16 v[72:75], v[102:103], a[106:107], v[72:75]// 000000006CD8: D3E10048 1522D566
	v_fma_f32 v57, v57, s57, -v125                             // 000000006CE0: D1CB0039 85F47339
	v_fma_f32 v58, v58, s57, -v126                             // 000000006CE8: D1CB003A 85F8733A
	v_fma_f32 v59, v59, s57, -v127                             // 000000006CF0: D1CB003B 85FC733B
	v_mfma_f32_16x16x16_bf16 v[72:75], v[104:105], a[108:109], v[72:75]// 000000006CF8: D3E10048 1522D968
	v_exp_f32_e32 v48, v48                                     // 000000006D00: 7E604130
	v_mfma_f32_16x16x16_bf16 v[72:75], v[106:107], a[110:111], v[72:75]// 000000006D04: D3E10048 1522DD6A
	v_exp_f32_e32 v49, v49                                     // 000000006D0C: 7E624131
	v_mfma_f32_16x16x16_bf16 v[76:79], v[92:93], a[112:113], 0 // 000000006D10: D3E1004C 1202E15C
	ds_read_b64 v[136:137], v19 offset:24320                   // 000000006D18: D8EC5F00 88000013
	ds_read_b64 v[138:139], v19 offset:26368                   // 000000006D20: D8EC6700 8A000013
	v_mfma_f32_16x16x16_bf16 v[76:79], v[94:95], a[114:115], v[76:79]// 000000006D28: D3E1004C 1532E55E
	v_exp_f32_e32 v50, v50                                     // 000000006D30: 7E644132
	v_mfma_f32_16x16x16_bf16 v[76:79], v[96:97], a[116:117], v[76:79]// 000000006D34: D3E1004C 1532E960
	ds_read_b64 v[140:141], v19 offset:28416                   // 000000006D3C: D8EC6F00 8C000013
	ds_read_b64 v[142:143], v19 offset:30464                   // 000000006D44: D8EC7700 8E000013
	v_mfma_f32_16x16x16_bf16 v[76:79], v[98:99], a[118:119], v[76:79]// 000000006D4C: D3E1004C 1532ED62
	v_exp_f32_e32 v51, v51                                     // 000000006D54: 7E664133
	v_mfma_f32_16x16x16_bf16 v[76:79], v[100:101], a[120:121], v[76:79]// 000000006D58: D3E1004C 1532F164
	v_exp_f32_e32 v52, v52                                     // 000000006D60: 7E684134
	v_mfma_f32_16x16x16_bf16 v[76:79], v[102:103], a[122:123], v[76:79]// 000000006D64: D3E1004C 1532F566
	v_exp_f32_e32 v53, v53                                     // 000000006D6C: 7E6A4135
	v_mfma_f32_16x16x16_bf16 v[76:79], v[104:105], a[124:125], v[76:79]// 000000006D70: D3E1004C 1532F968
	v_exp_f32_e32 v54, v54                                     // 000000006D78: 7E6C4136
	v_mfma_f32_16x16x16_bf16 v[76:79], v[106:107], a[126:127], v[76:79]// 000000006D7C: D3E1004C 1532FD6A
	v_exp_f32_e32 v55, v55                                     // 000000006D84: 7E6E4137
	v_mfma_f32_16x16x16_bf16 v[80:83], v[92:93], a[128:129], 0 // 000000006D88: D3E10050 1203015C
	v_exp_f32_e32 v56, v56                                     // 000000006D90: 7E704138
	v_mfma_f32_16x16x16_bf16 v[80:83], v[94:95], a[130:131], v[80:83]// 000000006D94: D3E10050 1543055E
	v_exp_f32_e32 v57, v57                                     // 000000006D9C: 7E724139
	v_mfma_f32_16x16x16_bf16 v[80:83], v[96:97], a[132:133], v[80:83]// 000000006DA0: D3E10050 15430960
	v_exp_f32_e32 v58, v58                                     // 000000006DA8: 7E74413A
	v_mfma_f32_16x16x16_bf16 v[80:83], v[98:99], a[134:135], v[80:83]// 000000006DAC: D3E10050 15430D62
	v_exp_f32_e32 v59, v59                                     // 000000006DB4: 7E76413B
	v_mfma_f32_16x16x16_bf16 v[80:83], v[100:101], a[136:137], v[80:83]// 000000006DB8: D3E10050 15431164
	v_cmp_u_f32_e64 s[78:79], v48, v48                         // 000000006DC0: D048004E 00026130
	v_add3_u32 v248, v48, v251, 1                              // 000000006DC8: D1FF00F8 0207F730
	v_cndmask_b32_e64 v28, v248, v250, s[78:79]                // 000000006DD0: D100001C 013BF5F8
	v_cmp_u_f32_e64 s[78:79], v49, v49                         // 000000006DD8: D048004E 00026331
	v_add3_u32 v248, v49, v251, 1                              // 000000006DE0: D1FF00F8 0207F731
	v_cndmask_b32_e64 v29, v248, v250, s[78:79]                // 000000006DE8: D100001D 013BF5F8
	v_perm_b32 v144, v29, v28, s64                             // 000000006DF0: D1ED0090 0102391D
	v_cmp_u_f32_e64 s[78:79], v50, v50                         // 000000006DF8: D048004E 00026532
	v_add3_u32 v248, v50, v251, 1                              // 000000006E00: D1FF00F8 0207F732
	v_cndmask_b32_e64 v28, v248, v250, s[78:79]                // 000000006E08: D100001C 013BF5F8
	v_cmp_u_f32_e64 s[78:79], v51, v51                         // 000000006E10: D048004E 00026733
	v_add3_u32 v248, v51, v251, 1                              // 000000006E18: D1FF00F8 0207F733
	v_cndmask_b32_e64 v29, v248, v250, s[78:79]                // 000000006E20: D100001D 013BF5F8
	v_perm_b32 v145, v29, v28, s64                             // 000000006E28: D1ED0091 0102391D
	v_cmp_u_f32_e64 s[78:79], v52, v52                         // 000000006E30: D048004E 00026934
	v_add3_u32 v248, v52, v251, 1                              // 000000006E38: D1FF00F8 0207F734
	v_cndmask_b32_e64 v28, v248, v250, s[78:79]                // 000000006E40: D100001C 013BF5F8
	v_cmp_u_f32_e64 s[78:79], v53, v53                         // 000000006E48: D048004E 00026B35
	v_add3_u32 v248, v53, v251, 1                              // 000000006E50: D1FF00F8 0207F735
	v_cndmask_b32_e64 v29, v248, v250, s[78:79]                // 000000006E58: D100001D 013BF5F8
	v_perm_b32 v146, v29, v28, s64                             // 000000006E60: D1ED0092 0102391D
	v_mfma_f32_16x16x16_bf16 v[80:83], v[102:103], a[138:139], v[80:83]// 000000006E68: D3E10050 15431566
	v_cmp_u_f32_e64 s[78:79], v54, v54                         // 000000006E70: D048004E 00026D36
	v_add3_u32 v248, v54, v251, 1                              // 000000006E78: D1FF00F8 0207F736
	v_cndmask_b32_e64 v28, v248, v250, s[78:79]                // 000000006E80: D100001C 013BF5F8
	v_cmp_u_f32_e64 s[78:79], v55, v55                         // 000000006E88: D048004E 00026F37
	v_add3_u32 v248, v55, v251, 1                              // 000000006E90: D1FF00F8 0207F737
	v_cndmask_b32_e64 v29, v248, v250, s[78:79]                // 000000006E98: D100001D 013BF5F8
	v_perm_b32 v147, v29, v28, s64                             // 000000006EA0: D1ED0093 0102391D
	v_cmp_u_f32_e64 s[78:79], v56, v56                         // 000000006EA8: D048004E 00027138
	v_add3_u32 v248, v56, v251, 1                              // 000000006EB0: D1FF00F8 0207F738
	v_cndmask_b32_e64 v28, v248, v250, s[78:79]                // 000000006EB8: D100001C 013BF5F8
	v_cmp_u_f32_e64 s[78:79], v57, v57                         // 000000006EC0: D048004E 00027339
	v_add3_u32 v248, v57, v251, 1                              // 000000006EC8: D1FF00F8 0207F739
	v_cndmask_b32_e64 v29, v248, v250, s[78:79]                // 000000006ED0: D100001D 013BF5F8
	v_perm_b32 v148, v29, v28, s64                             // 000000006ED8: D1ED0094 0102391D
	v_cmp_u_f32_e64 s[78:79], v58, v58                         // 000000006EE0: D048004E 0002753A
	v_add3_u32 v248, v58, v251, 1                              // 000000006EE8: D1FF00F8 0207F73A
	v_cndmask_b32_e64 v28, v248, v250, s[78:79]                // 000000006EF0: D100001C 013BF5F8
	v_cmp_u_f32_e64 s[78:79], v59, v59                         // 000000006EF8: D048004E 0002773B
	v_add3_u32 v248, v59, v251, 1                              // 000000006F00: D1FF00F8 0207F73B
	v_cndmask_b32_e64 v29, v248, v250, s[78:79]                // 000000006F08: D100001D 013BF5F8
	v_perm_b32 v149, v29, v28, s64                             // 000000006F10: D1ED0095 0102391D
	v_mfma_f32_16x16x16_bf16 v[80:83], v[104:105], a[140:141], v[80:83]// 000000006F18: D3E10050 15431968
	v_add_u32_e32 v7, s66, v7                                  // 000000006F20: 680E0E42
	v_add_u32_e32 v8, s66, v8                                  // 000000006F24: 68101042
	v_mfma_f32_16x16x16_bf16 v[80:83], v[106:107], a[142:143], v[80:83]// 000000006F28: D3E10050 15431D6A
	s_waitcnt lgkmcnt(0)                                       // 000000006F30: BF8CC07F
	s_barrier                                                  // 000000006F34: BF8A0000
	v_mfma_f32_16x16x16_bf16 v[152:155], v[108:109], v[144:145], v[152:155]// 000000006F38: D3E10098 0663216C
	v_subrev_f32_dpp v72, v150, v72 quad_perm:[0,0,0,0] row_mask:0xf bank_mask:0xf// 000000006F40: 069090FA FF000096
	v_subrev_f32_dpp v73, v150, v73 quad_perm:[1,1,1,1] row_mask:0xf bank_mask:0xf// 000000006F48: 069292FA FF005596
	v_subrev_f32_dpp v74, v150, v74 quad_perm:[2,2,2,2] row_mask:0xf bank_mask:0xf// 000000006F50: 069494FA FF00AA96
	v_mfma_f32_16x16x16_bf16 v[156:159], v[110:111], v[144:145], v[156:159]// 000000006F58: D3E1009C 0673216E
	v_subrev_f32_dpp v75, v150, v75 quad_perm:[3,3,3,3] row_mask:0xf bank_mask:0xf// 000000006F60: 069696FA FF00FF96
	v_subrev_f32_dpp v76, v150, v76 quad_perm:[0,0,0,0] row_mask:0xf bank_mask:0xf// 000000006F68: 069898FA FF000096
	v_subrev_f32_dpp v77, v150, v77 quad_perm:[1,1,1,1] row_mask:0xf bank_mask:0xf// 000000006F70: 069A9AFA FF005596
	v_mfma_f32_16x16x16_bf16 v[160:163], v[112:113], v[144:145], v[160:163]// 000000006F78: D3E100A0 06832170
	v_mul_f32_e32 v72, v48, v72                                // 000000006F80: 0A909130
	v_mul_f32_e32 v73, v49, v73                                // 000000006F84: 0A929331
	v_mul_f32_e32 v74, v50, v74                                // 000000006F88: 0A949532
	v_mfma_f32_16x16x16_bf16 v[164:167], v[114:115], v[144:145], v[164:167]// 000000006F8C: D3E100A4 06932172
	v_mul_f32_e32 v75, v51, v75                                // 000000006F94: 0A969733
	v_mul_f32_e32 v76, v52, v76                                // 000000006F98: 0A989934
	v_mul_f32_e32 v77, v53, v77                                // 000000006F9C: 0A9A9B35
	v_mfma_f32_16x16x16_bf16 v[168:171], v[116:117], v[144:145], v[168:171]// 000000006FA0: D3E100A8 06A32174
	v_cmp_u_f32_e64 s[78:79], v72, v72                         // 000000006FA8: D048004E 00029148
	v_add3_u32 v248, v72, v251, 1                              // 000000006FB0: D1FF00F8 0207F748
	v_cndmask_b32_e64 v28, v248, v250, s[78:79]                // 000000006FB8: D100001C 013BF5F8
	v_cmp_u_f32_e64 s[78:79], v73, v73                         // 000000006FC0: D048004E 00029349
	v_add3_u32 v248, v73, v251, 1                              // 000000006FC8: D1FF00F8 0207F749
	v_cndmask_b32_e64 v29, v248, v250, s[78:79]                // 000000006FD0: D100001D 013BF5F8
	v_perm_b32 v72, v29, v28, s64                              // 000000006FD8: D1ED0048 0102391D
	v_cmp_u_f32_e64 s[78:79], v74, v74                         // 000000006FE0: D048004E 0002954A
	v_add3_u32 v248, v74, v251, 1                              // 000000006FE8: D1FF00F8 0207F74A
	v_cndmask_b32_e64 v28, v248, v250, s[78:79]                // 000000006FF0: D100001C 013BF5F8
	v_cmp_u_f32_e64 s[78:79], v75, v75                         // 000000006FF8: D048004E 0002974B
	v_add3_u32 v248, v75, v251, 1                              // 000000007000: D1FF00F8 0207F74B
	v_cndmask_b32_e64 v29, v248, v250, s[78:79]                // 000000007008: D100001D 013BF5F8
	v_perm_b32 v73, v29, v28, s64                              // 000000007010: D1ED0049 0102391D
	v_cmp_u_f32_e64 s[78:79], v76, v76                         // 000000007018: D048004E 0002994C
	v_add3_u32 v248, v76, v251, 1                              // 000000007020: D1FF00F8 0207F74C
	v_cndmask_b32_e64 v28, v248, v250, s[78:79]                // 000000007028: D100001C 013BF5F8
	v_cmp_u_f32_e64 s[78:79], v77, v77                         // 000000007030: D048004E 00029B4D
	v_add3_u32 v248, v77, v251, 1                              // 000000007038: D1FF00F8 0207F74D
	v_cndmask_b32_e64 v29, v248, v250, s[78:79]                // 000000007040: D100001D 013BF5F8
	v_perm_b32 v74, v29, v28, s64                              // 000000007048: D1ED004A 0102391D
	v_mfma_f32_16x16x16_bf16 v[172:175], v[118:119], v[144:145], v[172:175]// 000000007050: D3E100AC 06B32176
	v_mov_b32_dpp v16, v72 quad_perm:[1,0,3,2] row_mask:0xf bank_mask:0xf// 000000007058: 7E2002FA FF00B148
	v_perm_b32 v48, v16, v72, v15                              // 000000007060: D1ED0030 043E9110
	v_mov_b32_dpp v16, v73 quad_perm:[1,0,3,2] row_mask:0xf bank_mask:0xf// 000000007068: 7E2002FA FF00B149
	v_mfma_f32_16x16x16_bf16 v[176:179], v[120:121], v[144:145], v[176:179]// 000000007070: D3E100B0 06C32178
	v_perm_b32 v49, v16, v73, v15                              // 000000007078: D1ED0031 043E9310
	v_mov_b32_dpp v16, v74 quad_perm:[1,0,3,2] row_mask:0xf bank_mask:0xf// 000000007080: 7E2002FA FF00B14A
	v_perm_b32 v50, v16, v74, v15                              // 000000007088: D1ED0032 043E9510
	v_mfma_f32_16x16x16_bf16 v[180:183], v[122:123], v[144:145], v[180:183]// 000000007090: D3E100B4 06D3217A
	ds_write_b32 v18, v48 offset:17408                         // 000000007098: D81A4400 00003012
	v_mfma_f32_16x16x16_bf16 v[184:187], v[108:109], v[146:147], v[184:187]// 0000000070A0: D3E100B8 06E3256C
	v_subrev_f32_dpp v78, v150, v78 quad_perm:[2,2,2,2] row_mask:0xf bank_mask:0xf// 0000000070A8: 069C9CFA FF00AA96
	v_subrev_f32_dpp v79, v150, v79 quad_perm:[3,3,3,3] row_mask:0xf bank_mask:0xf// 0000000070B0: 069E9EFA FF00FF96
	v_subrev_f32_dpp v80, v150, v80 quad_perm:[0,0,0,0] row_mask:0xf bank_mask:0xf// 0000000070B8: 06A0A0FA FF000096
	v_mfma_f32_16x16x16_bf16 v[188:191], v[110:111], v[146:147], v[188:191]// 0000000070C0: D3E100BC 06F3256E
	ds_write_b32 v18, v49 offset:17952                         // 0000000070C8: D81A4620 00003112
	v_mfma_f32_16x16x16_bf16 v[192:195], v[112:113], v[146:147], v[192:195]// 0000000070D0: D3E100C0 07032570
	v_subrev_f32_dpp v81, v150, v81 quad_perm:[1,1,1,1] row_mask:0xf bank_mask:0xf// 0000000070D8: 06A2A2FA FF005596
	v_subrev_f32_dpp v82, v150, v82 quad_perm:[2,2,2,2] row_mask:0xf bank_mask:0xf// 0000000070E0: 06A4A4FA FF00AA96
	v_subrev_f32_dpp v83, v150, v83 quad_perm:[3,3,3,3] row_mask:0xf bank_mask:0xf// 0000000070E8: 06A6A6FA FF00FF96
	v_mfma_f32_16x16x16_bf16 v[196:199], v[114:115], v[146:147], v[196:199]// 0000000070F0: D3E100C4 07132572
	ds_write_b32 v18, v50 offset:19712                         // 0000000070F8: D81A4D00 00003212
	v_mfma_f32_16x16x16_bf16 v[200:203], v[116:117], v[146:147], v[200:203]// 000000007100: D3E100C8 07232574
	v_mul_f32_e32 v78, v54, v78                                // 000000007108: 0A9C9D36
	v_mul_f32_e32 v79, v55, v79                                // 00000000710C: 0A9E9F37
	v_mul_f32_e32 v80, v56, v80                                // 000000007110: 0AA0A138
	v_mfma_f32_16x16x16_bf16 v[204:207], v[118:119], v[146:147], v[204:207]// 000000007114: D3E100CC 07332576
	v_mul_f32_e32 v81, v57, v81                                // 00000000711C: 0AA2A339
	v_mul_f32_e32 v82, v58, v82                                // 000000007120: 0AA4A53A
	v_mul_f32_e32 v83, v59, v83                                // 000000007124: 0AA6A73B
	v_mfma_f32_16x16x16_bf16 v[208:211], v[120:121], v[146:147], v[208:211]// 000000007128: D3E100D0 07432578
	v_cmp_u_f32_e64 s[78:79], v78, v78                         // 000000007130: D048004E 00029D4E
	v_add3_u32 v248, v78, v251, 1                              // 000000007138: D1FF00F8 0207F74E
	v_cndmask_b32_e64 v28, v248, v250, s[78:79]                // 000000007140: D100001C 013BF5F8
	v_cmp_u_f32_e64 s[78:79], v79, v79                         // 000000007148: D048004E 00029F4F
	v_add3_u32 v248, v79, v251, 1                              // 000000007150: D1FF00F8 0207F74F
	v_cndmask_b32_e64 v29, v248, v250, s[78:79]                // 000000007158: D100001D 013BF5F8
	v_perm_b32 v75, v29, v28, s64                              // 000000007160: D1ED004B 0102391D
	v_cmp_u_f32_e64 s[78:79], v80, v80                         // 000000007168: D048004E 0002A150
	v_add3_u32 v248, v80, v251, 1                              // 000000007170: D1FF00F8 0207F750
	v_cndmask_b32_e64 v28, v248, v250, s[78:79]                // 000000007178: D100001C 013BF5F8
	v_cmp_u_f32_e64 s[78:79], v81, v81                         // 000000007180: D048004E 0002A351
	v_add3_u32 v248, v81, v251, 1                              // 000000007188: D1FF00F8 0207F751
	v_cndmask_b32_e64 v29, v248, v250, s[78:79]                // 000000007190: D100001D 013BF5F8
	v_perm_b32 v76, v29, v28, s64                              // 000000007198: D1ED004C 0102391D
	v_cmp_u_f32_e64 s[78:79], v82, v82                         // 0000000071A0: D048004E 0002A552
	v_add3_u32 v248, v82, v251, 1                              // 0000000071A8: D1FF00F8 0207F752
	v_cndmask_b32_e64 v28, v248, v250, s[78:79]                // 0000000071B0: D100001C 013BF5F8
	v_cmp_u_f32_e64 s[78:79], v83, v83                         // 0000000071B8: D048004E 0002A753
	v_add3_u32 v248, v83, v251, 1                              // 0000000071C0: D1FF00F8 0207F753
	v_cndmask_b32_e64 v29, v248, v250, s[78:79]                // 0000000071C8: D100001D 013BF5F8
	v_perm_b32 v77, v29, v28, s64                              // 0000000071D0: D1ED004D 0102391D
	v_mfma_f32_16x16x16_bf16 v[212:215], v[122:123], v[146:147], v[212:215]// 0000000071D8: D3E100D4 0753257A
	v_mov_b32_dpp v16, v75 quad_perm:[1,0,3,2] row_mask:0xf bank_mask:0xf// 0000000071E0: 7E2002FA FF00B14B
	v_perm_b32 v51, v16, v75, v15                              // 0000000071E8: D1ED0033 043E9710
	v_mov_b32_dpp v16, v76 quad_perm:[1,0,3,2] row_mask:0xf bank_mask:0xf// 0000000071F0: 7E2002FA FF00B14C
	v_mfma_f32_16x16x16_bf16 v[216:219], v[108:109], v[148:149], v[216:219]// 0000000071F8: D3E100D8 0763296C
	v_perm_b32 v52, v16, v76, v15                              // 000000007200: D1ED0034 043E9910
	v_mov_b32_dpp v16, v77 quad_perm:[1,0,3,2] row_mask:0xf bank_mask:0xf// 000000007208: 7E2002FA FF00B14D
	v_perm_b32 v53, v16, v77, v15                              // 000000007210: D1ED0035 043E9B10
	v_mfma_f32_16x16x16_bf16 v[220:223], v[110:111], v[148:149], v[220:223]// 000000007218: D3E100DC 0773296E
	ds_write_b32 v18, v51 offset:20256                         // 000000007220: D81A4F20 00003312
	v_mfma_f32_16x16x16_bf16 v[224:227], v[112:113], v[148:149], v[224:227]// 000000007228: D3E100E0 07832970
	v_mfma_f32_16x16x16_bf16 v[228:231], v[114:115], v[148:149], v[228:231]// 000000007230: D3E100E4 07932972
	ds_write_b32 v18, v52 offset:22016                         // 000000007238: D81A5600 00003412
	ds_write_b32 v18, v53 offset:22560                         // 000000007240: D81A5820 00003512
	v_mfma_f32_16x16x16_bf16 v[232:235], v[116:117], v[148:149], v[232:235]// 000000007248: D3E100E8 07A32974
	v_mfma_f32_16x16x16_bf16 v[236:239], v[118:119], v[148:149], v[236:239]// 000000007250: D3E100EC 07B32976
	ds_write_b32 v13, v84 offset:4352                          // 000000007258: D81A1100 0000540D
	ds_write_b32 v13, v85 offset:5408                          // 000000007260: D81A1520 0000550D
	v_mfma_f32_16x16x16_bf16 v[240:243], v[120:121], v[148:149], v[240:243]// 000000007268: D3E100F0 07C32978
	s_nop 0                                                    // 000000007270: BF800000
	s_nop 0                                                    // 000000007274: BF800000
	;; [unrolled: 1-line block ×3, first 2 shown]
	v_mfma_f32_16x16x16_bf16 v[244:247], v[122:123], v[148:149], v[244:247]// 00000000727C: D3E100F4 07D3297A
	ds_write_b32 v13, v86 offset:4480                          // 000000007284: D81A1180 0000560D
	ds_write_b32 v13, v87 offset:5536                          // 00000000728C: D81A15A0 0000570D
	s_barrier                                                  // 000000007294: BF8A0000
	v_mfma_f32_16x16x16_bf16 a[160:163], a[144:145], v[72:73], a[160:163]// 000000007298: D3E180A0 0E829190
	buffer_atomic_add_f32 v136, v7, s[32:35], 0 offen          // 0000000072A0: E1341000 80088807
	v_mfma_f32_16x16x16_bf16 a[164:167], a[146:147], v[72:73], a[164:167]// 0000000072A8: D3E180A4 0E929192
	ds_read_b32 v124, v21 offset:51200                         // 0000000072B0: D86CC800 7C000015
	ds_read_b32 v150, v21 offset:51456                         // 0000000072B8: D86CC900 96000015
	v_mfma_f32_16x16x16_bf16 a[168:171], a[148:149], v[72:73], a[168:171]// 0000000072C0: D3E180A8 0EA29194
	s_waitcnt lgkmcnt(6)                                       // 0000000072C8: BF8CC67F
	s_barrier                                                  // 0000000072CC: BF8A0000
	v_mfma_f32_16x16x16_bf16 a[172:175], a[150:151], v[72:73], a[172:175]// 0000000072D0: D3E180AC 0EB29196
	ds_read_b128 v[48:51], v17 offset:17408                    // 0000000072D8: D9FE4400 30000011
	v_mfma_f32_16x16x16_bf16 a[176:179], a[152:153], v[72:73], a[176:179]// 0000000072E0: D3E180B0 0EC29198
	v_mfma_f32_16x16x16_bf16 a[180:183], a[154:155], v[72:73], a[180:183]// 0000000072E8: D3E180B4 0ED2919A
	ds_read_b128 v[52:55], v17 offset:18560                    // 0000000072F0: D9FE4880 34000011
	v_mfma_f32_16x16x16_bf16 a[184:187], a[156:157], v[72:73], a[184:187]// 0000000072F8: D3E180B8 0EE2919C
	buffer_atomic_add_f32 v137, v8, s[32:35], 0 offen          // 000000007300: E1341000 80088908
	v_mfma_f32_16x16x16_bf16 a[188:191], a[158:159], v[72:73], a[188:191]// 000000007308: D3E180BC 0EF2919E
	ds_read_b128 v[56:59], v17 offset:19712                    // 000000007310: D9FE4D00 38000011
	v_mfma_f32_16x16x16_bf16 a[192:195], a[144:145], v[74:75], a[192:195]// 000000007318: D3E180C0 0F029590
	v_mfma_f32_16x16x16_bf16 a[196:199], a[146:147], v[74:75], a[196:199]// 000000007320: D3E180C4 0F129592
	ds_read_b128 v[60:63], v17 offset:20864                    // 000000007328: D9FE5180 3C000011
	v_mfma_f32_16x16x16_bf16 a[200:203], a[148:149], v[74:75], a[200:203]// 000000007330: D3E180C8 0F229594
	v_mfma_f32_16x16x16_bf16 a[204:207], a[150:151], v[74:75], a[204:207]// 000000007338: D3E180CC 0F329596
	ds_read_b128 v[64:67], v17 offset:22016                    // 000000007340: D9FE5600 40000011
	v_mfma_f32_16x16x16_bf16 a[208:211], a[152:153], v[74:75], a[208:211]// 000000007348: D3E180D0 0F429598
	buffer_atomic_add_f32 v138, v7, s[32:35], 0 offen offset:128// 000000007350: E1341080 80088A07
	v_mfma_f32_16x16x16_bf16 a[212:215], a[154:155], v[74:75], a[212:215]// 000000007358: D3E180D4 0F52959A
	ds_read_b128 v[68:71], v17 offset:23168                    // 000000007360: D9FE5A80 44000011
	v_mfma_f32_16x16x16_bf16 a[216:219], a[156:157], v[74:75], a[216:219]// 000000007368: D3E180D8 0F62959C
	v_mfma_f32_16x16x16_bf16 a[220:223], a[158:159], v[74:75], a[220:223]// 000000007370: D3E180DC 0F72959E
	ds_write_b32 v13, v88 offset:13056                         // 000000007378: D81A3300 0000580D
	v_mfma_f32_16x16x16_bf16 a[224:227], a[144:145], v[76:77], a[224:227]// 000000007380: D3E180E0 0F829990
	v_mfma_f32_16x16x16_bf16 a[228:231], a[146:147], v[76:77], a[228:231]// 000000007388: D3E180E4 0F929992
	ds_write_b32 v13, v89 offset:14112                         // 000000007390: D81A3720 0000590D
	v_mfma_f32_16x16x16_bf16 a[232:235], a[148:149], v[76:77], a[232:235]// 000000007398: D3E180E8 0FA29994
	buffer_atomic_add_f32 v139, v8, s[32:35], 0 offen offset:128// 0000000073A0: E1341080 80088B08
	v_mfma_f32_16x16x16_bf16 a[236:239], a[150:151], v[76:77], a[236:239]// 0000000073A8: D3E180EC 0FB29996
	ds_write_b32 v13, v90 offset:13184                         // 0000000073B0: D81A3380 00005A0D
	v_mfma_f32_16x16x16_bf16 a[240:243], a[152:153], v[76:77], a[240:243]// 0000000073B8: D3E180F0 0FC29998
	v_mfma_f32_16x16x16_bf16 a[244:247], a[154:155], v[76:77], a[244:247]// 0000000073C0: D3E180F4 0FD2999A
	ds_write_b32 v13, v91 offset:14240                         // 0000000073C8: D81A37A0 00005B0D
	v_mfma_f32_16x16x16_bf16 a[248:251], a[156:157], v[76:77], a[248:251]// 0000000073D0: D3E180F8 0FE2999C
	v_mfma_f32_16x16x16_bf16 a[252:255], a[158:159], v[76:77], a[252:255]// 0000000073D8: D3E180FC 0FF2999E
	s_waitcnt vmcnt(8) lgkmcnt(4)                              // 0000000073E0: BF8C0478
	s_barrier                                                  // 0000000073E4: BF8A0000
	v_mfma_f32_16x16x16_bf16 v[128:131], v[48:49], a[48:49], 0 // 0000000073E8: D3E10080 12026130
	v_mul_f32_e32 v124, s48, v124                              // 0000000073F0: 0AF8F830
	s_nop 0                                                    // 0000000073F4: BF800000
	v_mfma_f32_16x16x16_bf16 v[128:131], v[50:51], a[52:53], v[128:131]// 0000000073F8: D3E10080 16026932
	ds_read_b128 a[144:147], v10                               // 000000007400: DBFE0000 9000000A
	v_mov_b32_e32 v36, 0                                       // 000000007408: 7E480280
	s_mov_b64 exec, s[90:91]                                   // 00000000740C: BEFE015A
	buffer_load_dword v36, v1, s[8:11], 0 idxen                // 000000007410: E0502000 80022401
	s_mov_b32 exec_lo, -1                                      // 000000007418: BEFE00C1
	s_mov_b32 exec_hi, -1                                      // 00000000741C: BEFF00C1
	v_mfma_f32_16x16x16_bf16 v[128:131], v[52:53], a[56:57], v[128:131]// 000000007420: D3E10080 16027134
	v_mfma_f32_16x16x16_bf16 v[128:131], v[54:55], a[60:61], v[128:131]// 000000007428: D3E10080 16027936
	ds_read_b128 a[148:151], v10 offset:512                    // 000000007430: DBFE0200 9400000A
	v_mov_b32_e32 v37, 0                                       // 000000007438: 7E4A0280
	s_mov_b64 exec, s[90:91]                                   // 00000000743C: BEFE015A
	buffer_load_dword v37, v2, s[8:11], 0 idxen                // 000000007440: E0502000 80022502
	s_mov_b32 exec_lo, -1                                      // 000000007448: BEFE00C1
	s_mov_b32 exec_hi, -1                                      // 00000000744C: BEFF00C1
	v_mfma_f32_16x16x16_bf16 v[128:131], v[56:57], a[64:65], v[128:131]// 000000007450: D3E10080 16028138
	v_perm_b32 v84, v33, v32, s63                              // 000000007458: D1ED0054 00FE4121
	v_perm_b32 v85, v33, v32, s64                              // 000000007460: D1ED0055 01024121
	v_mfma_f32_16x16x16_bf16 v[128:131], v[58:59], a[68:69], v[128:131]// 000000007468: D3E10080 1602893A
	ds_read_b128 a[152:155], v10 offset:2176                   // 000000007470: DBFE0880 9800000A
	v_mov_b32_e32 v38, 0                                       // 000000007478: 7E4C0280
	s_mov_b64 exec, s[90:91]                                   // 00000000747C: BEFE015A
	buffer_load_dword v38, v3, s[8:11], 0 idxen                // 000000007480: E0502000 80022603
	s_mov_b32 exec_lo, -1                                      // 000000007488: BEFE00C1
	s_mov_b32 exec_hi, -1                                      // 00000000748C: BEFF00C1
	v_mfma_f32_16x16x16_bf16 v[128:131], v[60:61], a[72:73], v[128:131]// 000000007490: D3E10080 1602913C
	v_perm_b32 v86, v35, v34, s63                              // 000000007498: D1ED0056 00FE4523
	v_perm_b32 v87, v35, v34, s64                              // 0000000074A0: D1ED0057 01024523
	v_mfma_f32_16x16x16_bf16 v[128:131], v[62:63], a[76:77], v[128:131]// 0000000074A8: D3E10080 1602993E
	ds_read_b128 a[156:159], v10 offset:2688                   // 0000000074B0: DBFE0A80 9C00000A
	v_mov_b32_e32 v39, 0                                       // 0000000074B8: 7E4E0280
	s_mov_b64 exec, s[90:91]                                   // 0000000074BC: BEFE015A
	buffer_load_dword v39, v4, s[8:11], 0 idxen                // 0000000074C0: E0502000 80022704
	s_mov_b32 exec_lo, -1                                      // 0000000074C8: BEFE00C1
	s_mov_b32 exec_hi, -1                                      // 0000000074CC: BEFF00C1
	v_mfma_f32_16x16x16_bf16 v[128:131], v[64:65], a[80:81], v[128:131]// 0000000074D0: D3E10080 1602A140
	v_perm_b32 v88, v41, v40, s63                              // 0000000074D8: D1ED0058 00FE5129
	v_perm_b32 v89, v41, v40, s64                              // 0000000074E0: D1ED0059 01025129
	v_mfma_f32_16x16x16_bf16 v[128:131], v[66:67], a[84:85], v[128:131]// 0000000074E8: D3E10080 1602A942
	ds_read_b128 v[92:95], v10 offset:8704                     // 0000000074F0: D9FE2200 5C00000A
	v_mov_b32_e32 v44, 0                                       // 0000000074F8: 7E580280
	s_mov_b64 exec, s[90:91]                                   // 0000000074FC: BEFE015A
	buffer_load_dword v44, v252, s[20:23], 0 idxen             // 000000007500: E0502000 80052CFC
	s_mov_b32 exec_lo, -1                                      // 000000007508: BEFE00C1
	s_mov_b32 exec_hi, -1                                      // 00000000750C: BEFF00C1
	v_mfma_f32_16x16x16_bf16 v[128:131], v[68:69], a[88:89], v[128:131]// 000000007510: D3E10080 1602B144
	v_perm_b32 v90, v43, v42, s63                              // 000000007518: D1ED005A 00FE552B
	v_perm_b32 v91, v43, v42, s64                              // 000000007520: D1ED005B 0102552B
	v_mfma_f32_16x16x16_bf16 v[128:131], v[70:71], a[92:93], v[128:131]// 000000007528: D3E10080 1602B946
	ds_read_b128 v[96:99], v10 offset:9216                     // 000000007530: D9FE2400 6000000A
	v_mov_b32_e32 v45, 0                                       // 000000007538: 7E5A0280
	s_mov_b64 exec, s[90:91]                                   // 00000000753C: BEFE015A
	buffer_load_dword v45, v253, s[20:23], 0 idxen             // 000000007540: E0502000 80052DFD
	s_mov_b32 exec_lo, -1                                      // 000000007548: BEFE00C1
	s_mov_b32 exec_hi, -1                                      // 00000000754C: BEFF00C1
	v_mfma_f32_16x16x16_bf16 v[132:135], v[48:49], a[50:51], 0 // 000000007550: D3E10084 12026530
	v_mov_b32_dpp v127, v124 quad_perm:[3,3,3,3] row_mask:0xf bank_mask:0xf// 000000007558: 7EFE02FA FF00FF7C
	v_mov_b32_dpp v126, v124 quad_perm:[2,2,2,2] row_mask:0xf bank_mask:0xf// 000000007560: 7EFC02FA FF00AA7C
	v_mfma_f32_16x16x16_bf16 v[132:135], v[50:51], a[54:55], v[132:135]// 000000007568: D3E10084 16126D32
	ds_read_b128 v[100:103], v10 offset:10880                  // 000000007570: D9FE2A80 6400000A
	v_mov_b32_e32 v46, 0                                       // 000000007578: 7E5C0280
	s_mov_b64 exec, s[90:91]                                   // 00000000757C: BEFE015A
	buffer_load_dword v46, v254, s[20:23], 0 idxen             // 000000007580: E0502000 80052EFE
	s_mov_b32 exec_lo, -1                                      // 000000007588: BEFE00C1
	s_mov_b32 exec_hi, -1                                      // 00000000758C: BEFF00C1
	v_mfma_f32_16x16x16_bf16 v[132:135], v[52:53], a[58:59], v[132:135]// 000000007590: D3E10084 16127534
	v_mov_b32_dpp v125, v124 quad_perm:[1,1,1,1] row_mask:0xf bank_mask:0xf// 000000007598: 7EFA02FA FF00557C
	v_mov_b32_dpp v124, v124 quad_perm:[0,0,0,0] row_mask:0xf bank_mask:0xf// 0000000075A0: 7EF802FA FF00007C
	s_add_u32 s60, 64, s59                                     // 0000000075A8: 803C3BC0
	v_mfma_f32_16x16x16_bf16 v[132:135], v[54:55], a[62:63], v[132:135]// 0000000075AC: D3E10084 16127D36
	ds_read_b128 v[104:107], v10 offset:11392                  // 0000000075B4: D9FE2C80 6800000A
	v_mov_b32_e32 v47, 0                                       // 0000000075BC: 7E5E0280
	s_mov_b64 exec, s[90:91]                                   // 0000000075C0: BEFE015A
	buffer_load_dword v47, v255, s[20:23], 0 idxen             // 0000000075C4: E0502000 80052FFF
	s_mov_b32 exec_lo, -1                                      // 0000000075CC: BEFE00C1
	s_mov_b32 exec_hi, -1                                      // 0000000075D0: BEFF00C1
	v_mfma_f32_16x16x16_bf16 v[132:135], v[56:57], a[66:67], v[132:135]// 0000000075D4: D3E10084 16128538
	s_cmp_lt_u32 s60, s58                                      // 0000000075DC: BF0A3A3C
	s_cselect_b32 s68, s68, 0                                  // 0000000075E0: 85448044
	s_cselect_b32 s99, s99, 0                                  // 0000000075E4: 85638063
	s_cselect_b32 s69, s69, 0                                  // 0000000075E8: 85458045
	v_mfma_f32_16x16x16_bf16 v[132:135], v[58:59], a[70:71], v[132:135]// 0000000075EC: D3E10084 16128D3A
	buffer_load_dword v9, s[24:27], 0 idxen lds                // 0000000075F4: E0512000 80060009
	v_mfma_f32_16x16x16_bf16 v[132:135], v[60:61], a[74:75], v[132:135]// 0000000075FC: D3E10084 1612953C
	v_add_u32_e32 v1, s68, v1                                  // 000000007604: 68020244
	v_add_u32_e32 v2, s68, v2                                  // 000000007608: 68040444
	v_add_u32_e32 v3, s68, v3                                  // 00000000760C: 68060644
	v_add_u32_e32 v4, s68, v4                                  // 000000007610: 68080844
	v_mfma_f32_16x16x16_bf16 v[132:135], v[62:63], a[78:79], v[132:135]// 000000007614: D3E10084 16129D3E
	v_add_u32_e32 v252, s99, v252                              // 00000000761C: 69F9F863
	v_add_u32_e32 v253, s99, v253                              // 000000007620: 69FBFA63
	v_add_u32_e32 v254, s99, v254                              // 000000007624: 69FDFC63
	v_add_u32_e32 v255, s99, v255                              // 000000007628: 69FFFE63
	v_mfma_f32_16x16x16_bf16 v[132:135], v[64:65], a[82:83], v[132:135]// 00000000762C: D3E10084 1612A540
	s_mov_b32 m0, s80                                          // 000000007634: BEFC0050
	v_add_u32_e32 v9, s69, v9                                  // 000000007638: 68121245
	v_mfma_f32_16x16x16_bf16 v[132:135], v[66:67], a[86:87], v[132:135]// 00000000763C: D3E10084 1612AD42
	s_cmp_ge_u32 s59, s73                                      // 000000007644: BF09493B
	s_cselect_b32 s66, s67, s66                                // 000000007648: 85424243
	v_mfma_f32_16x16x16_bf16 v[132:135], v[68:69], a[90:91], v[132:135]// 00000000764C: D3E10084 1612B544
	s_addk_i32 s59, 0x10                                       // 000000007654: B73B0010
	s_nop 0                                                    // 000000007658: BF800000
	s_cmp_lt_i32 s59, s58                                      // 00000000765C: BF043A3B
	v_mfma_f32_16x16x16_bf16 v[132:135], v[70:71], a[94:95], v[132:135]// 000000007660: D3E10084 1612BD46
	s_cbranch_scc0 label_11DB                                  // 000000007668: BF8403B6
	s_waitcnt lgkmcnt(0)                                       // 00000000766C: BF8CC07F
	s_barrier                                                  // 000000007670: BF8A0000
	v_mfma_f32_16x16x16_bf16 v[48:51], a[144:145], a[0:1], 0   // 000000007674: D3E10030 1A020190
	ds_write_b32 v11, v40 offset:8704                          // 00000000767C: D81A2200 0000280B
	ds_write_b32 v11, v41 offset:9760                          // 000000007684: D81A2620 0000290B
	v_mfma_f32_16x16x16_bf16 v[48:51], a[146:147], a[2:3], v[48:51]// 00000000768C: D3E10030 1CC20592
	v_mul_f32_e32 v128, s47, v128                              // 000000007694: 0B01002F
	v_mul_f32_e32 v129, s47, v129                              // 000000007698: 0B03022F
	v_mfma_f32_16x16x16_bf16 v[48:51], a[148:149], a[4:5], v[48:51]// 00000000769C: D3E10030 1CC20994
	ds_write_b32 v11, v42 offset:8832                          // 0000000076A4: D81A2280 00002A0B
	ds_write_b32 v11, v43 offset:9888                          // 0000000076AC: D81A26A0 00002B0B
	v_mfma_f32_16x16x16_bf16 v[48:51], a[150:151], a[6:7], v[48:51]// 0000000076B4: D3E10030 1CC20D96
	v_mul_f32_e32 v130, s47, v130                              // 0000000076BC: 0B05042F
	v_mul_f32_e32 v131, s47, v131                              // 0000000076C0: 0B07062F
	v_mfma_f32_16x16x16_bf16 v[48:51], a[152:153], a[8:9], v[48:51]// 0000000076C4: D3E10030 1CC21198
	ds_write_b64 v20, v[128:129] offset:24320                  // 0000000076CC: D89A5F00 00008014
	v_mfma_f32_16x16x16_bf16 v[48:51], a[154:155], a[10:11], v[48:51]// 0000000076D4: D3E10030 1CC2159A
	v_mul_f32_e32 v132, s47, v132                              // 0000000076DC: 0B09082F
	v_mul_f32_e32 v133, s47, v133                              // 0000000076E0: 0B0B0A2F
	v_mfma_f32_16x16x16_bf16 v[48:51], a[156:157], a[12:13], v[48:51]// 0000000076E4: D3E10030 1CC2199C
	ds_write_b64 v20, v[130:131] offset:24832                  // 0000000076EC: D89A6100 00008214
	v_mfma_f32_16x16x16_bf16 v[48:51], a[158:159], a[14:15], v[48:51]// 0000000076F4: D3E10030 1CC21D9E
	v_mul_f32_e32 v134, s47, v134                              // 0000000076FC: 0B0D0C2F
	v_mul_f32_e32 v135, s47, v135                              // 000000007700: 0B0F0E2F
	v_mfma_f32_16x16x16_bf16 v[52:55], a[144:145], a[16:17], 0 // 000000007704: D3E10034 1A022190
	ds_write_b64 v20, v[132:133] offset:25344                  // 00000000770C: D89A6300 00008414
	v_mfma_f32_16x16x16_bf16 v[52:55], a[146:147], a[18:19], v[52:55]// 000000007714: D3E10034 1CD22592
	buffer_atomic_add_f32 v140, v7, s[32:35], 0 offen offset:256// 00000000771C: E1341100 80088C07
	v_mfma_f32_16x16x16_bf16 v[52:55], a[148:149], a[20:21], v[52:55]// 000000007724: D3E10034 1CD22994
	ds_write_b64 v20, v[134:135] offset:25856                  // 00000000772C: D89A6500 00008614
	v_mfma_f32_16x16x16_bf16 v[52:55], a[150:151], a[22:23], v[52:55]// 000000007734: D3E10034 1CD22D96
	v_mfma_f32_16x16x16_bf16 v[52:55], a[152:153], a[24:25], v[52:55]// 00000000773C: D3E10034 1CD23198
	ds_read_b128 v[108:111], v12 offset:13056                  // 000000007744: D9FE3300 6C00000C
	ds_write_b32 v11, v32                                      // 00000000774C: D81A0000 0000200B
	v_mfma_f32_16x16x16_bf16 v[52:55], a[154:155], a[26:27], v[52:55]// 000000007754: D3E10034 1CD2359A
	buffer_atomic_add_f32 v141, v8, s[32:35], 0 offen offset:256// 00000000775C: E1341100 80088D08
	v_mfma_f32_16x16x16_bf16 v[52:55], a[156:157], a[28:29], v[52:55]// 000000007764: D3E10034 1CD2399C
	v_mfma_f32_16x16x16_bf16 v[52:55], a[158:159], a[30:31], v[52:55]// 00000000776C: D3E10034 1CD23D9E
	ds_read_b128 v[112:115], v12 offset:13568                  // 000000007774: D9FE3500 7000000C
	ds_write_b32 v11, v33 offset:1056                          // 00000000777C: D81A0420 0000210B
	v_mfma_f32_16x16x16_bf16 v[56:59], a[144:145], a[32:33], 0 // 000000007784: D3E10038 1A024190
	buffer_atomic_add_f32 v142, v7, s[32:35], 0 offen offset:384// 00000000778C: E1341180 80088E07
	v_mfma_f32_16x16x16_bf16 v[56:59], a[146:147], a[34:35], v[56:59]// 000000007794: D3E10038 1CE24592
	v_mfma_f32_16x16x16_bf16 v[56:59], a[148:149], a[36:37], v[56:59]// 00000000779C: D3E10038 1CE24994
	ds_read_b128 v[116:119], v12 offset:15232                  // 0000000077A4: D9FE3B80 7400000C
	ds_write_b32 v11, v34 offset:128                           // 0000000077AC: D81A0080 0000220B
	v_mfma_f32_16x16x16_bf16 v[56:59], a[150:151], a[38:39], v[56:59]// 0000000077B4: D3E10038 1CE24D96
	v_mfma_f32_16x16x16_bf16 v[56:59], a[152:153], a[40:41], v[56:59]// 0000000077BC: D3E10038 1CE25198
	buffer_atomic_add_f32 v143, v8, s[32:35], 0 offen offset:384// 0000000077C4: E1341180 80088F08
	v_mfma_f32_16x16x16_bf16 v[56:59], a[154:155], a[42:43], v[56:59]// 0000000077CC: D3E10038 1CE2559A
	ds_read_b128 v[120:123], v12 offset:15744                  // 0000000077D4: D9FE3D80 7800000C
	ds_write_b32 v11, v35 offset:1184                          // 0000000077DC: D81A04A0 0000230B
	v_mfma_f32_16x16x16_bf16 v[56:59], a[156:157], a[44:45], v[56:59]// 0000000077E4: D3E10038 1CE2599C
	v_mfma_f32_16x16x16_bf16 v[56:59], a[158:159], a[46:47], v[56:59]// 0000000077EC: D3E10038 1CE25D9E
	s_cmp_lt_i32 s74, 12                                       // 0000000077F4: BF048C4A
	s_cbranch_scc0 label_0EF9                                  // 0000000077F8: BF840075
	s_mov_b32 s60, 0xffe0fffe                                  // 0000000077FC: BEBC00FF FFE0FFFE
	s_mov_b32 s61, 0xe000fe00                                  // 000000007804: BEBD00FF E000FE00
	s_nop 0                                                    // 00000000780C: BF800000
	s_add_u32 s62, 0, s46                                      // 000000007810: 803E2E80
	s_cmp_lt_i32 s74, s62                                      // 000000007814: BF043E4A
	s_cbranch_scc1 label_0EB4                                  // 000000007818: BF850028
	s_cmp_eq_i32 s74, s62                                      // 00000000781C: BF003E4A
	s_cbranch_scc1 label_0E99                                  // 000000007820: BF85000B
	s_add_u32 s62, 4, s46                                      // 000000007824: 803E2E84
	s_cmp_lt_i32 s74, s62                                      // 000000007828: BF043E4A
	s_cbranch_scc1 label_0ED4                                  // 00000000782C: BF850043
	s_cmp_eq_i32 s74, s62                                      // 000000007830: BF003E4A
	s_cbranch_scc1 label_0EB9                                  // 000000007834: BF850026
	s_add_u32 s62, 8, s46                                      // 000000007838: 803E2E88
	s_cmp_lt_i32 s74, s62                                      // 00000000783C: BF043E4A
	s_cbranch_scc1 label_0EF4                                  // 000000007840: BF85005E
	s_cmp_eq_i32 s74, s62                                      // 000000007844: BF003E4A
	s_cbranch_scc1 label_0ED9                                  // 000000007848: BF850041
	s_branch label_0EF9                                        // 00000000784C: BF820060

0000000000007850 <label_0E99>:
	v_cndmask_b32_e64 v48, v48, v151, s[60:61]                 // 000000007850: D1000030 00F32F30
	s_lshl_b32 s60, s60, 1                                     // 000000007858: 8E3C813C
	s_lshl_b32 s61, s61, 1                                     // 00000000785C: 8E3D813D
	s_and_b32 s60, 0xfffeffff, s60                             // 000000007860: 863C3CFF FFFEFFFF
	s_and_b32 s61, 0xfffeffff, s61                             // 000000007868: 863D3DFF FFFEFFFF
	v_cndmask_b32_e64 v49, v49, v151, s[60:61]                 // 000000007870: D1000031 00F32F31
	s_lshl_b32 s60, s60, 1                                     // 000000007878: 8E3C813C
	s_lshl_b32 s61, s61, 1                                     // 00000000787C: 8E3D813D
	s_and_b32 s60, 0xfffeffff, s60                             // 000000007880: 863C3CFF FFFEFFFF
	s_and_b32 s61, 0xfffeffff, s61                             // 000000007888: 863D3DFF FFFEFFFF
	v_cndmask_b32_e64 v50, v50, v151, s[60:61]                 // 000000007890: D1000032 00F32F32
	s_lshl_b32 s60, s60, 1                                     // 000000007898: 8E3C813C
	s_lshl_b32 s61, s61, 1                                     // 00000000789C: 8E3D813D
	s_and_b32 s60, 0xfffeffff, s60                             // 0000000078A0: 863C3CFF FFFEFFFF
	s_and_b32 s61, 0xfffeffff, s61                             // 0000000078A8: 863D3DFF FFFEFFFF
	v_cndmask_b32_e64 v51, v51, v151, s[60:61]                 // 0000000078B0: D1000033 00F32F33
	s_branch label_0ED4                                        // 0000000078B8: BF820020

00000000000078bc <label_0EB4>:
	v_mov_b32_e32 v48, v151                                    // 0000000078BC: 7E600397
	v_mov_b32_e32 v49, v151                                    // 0000000078C0: 7E620397
	v_mov_b32_e32 v50, v151                                    // 0000000078C4: 7E640397
	v_mov_b32_e32 v51, v151                                    // 0000000078C8: 7E660397
	s_branch label_0ED4                                        // 0000000078CC: BF82001B

00000000000078d0 <label_0EB9>:
	v_cndmask_b32_e64 v52, v52, v151, s[60:61]                 // 0000000078D0: D1000034 00F32F34
	s_lshl_b32 s60, s60, 1                                     // 0000000078D8: 8E3C813C
	s_lshl_b32 s61, s61, 1                                     // 0000000078DC: 8E3D813D
	s_and_b32 s60, 0xfffeffff, s60                             // 0000000078E0: 863C3CFF FFFEFFFF
	s_and_b32 s61, 0xfffeffff, s61                             // 0000000078E8: 863D3DFF FFFEFFFF
	v_cndmask_b32_e64 v53, v53, v151, s[60:61]                 // 0000000078F0: D1000035 00F32F35
	s_lshl_b32 s60, s60, 1                                     // 0000000078F8: 8E3C813C
	s_lshl_b32 s61, s61, 1                                     // 0000000078FC: 8E3D813D
	s_and_b32 s60, 0xfffeffff, s60                             // 000000007900: 863C3CFF FFFEFFFF
	s_and_b32 s61, 0xfffeffff, s61                             // 000000007908: 863D3DFF FFFEFFFF
	v_cndmask_b32_e64 v54, v54, v151, s[60:61]                 // 000000007910: D1000036 00F32F36
	s_lshl_b32 s60, s60, 1                                     // 000000007918: 8E3C813C
	s_lshl_b32 s61, s61, 1                                     // 00000000791C: 8E3D813D
	s_and_b32 s60, 0xfffeffff, s60                             // 000000007920: 863C3CFF FFFEFFFF
	s_and_b32 s61, 0xfffeffff, s61                             // 000000007928: 863D3DFF FFFEFFFF
	v_cndmask_b32_e64 v55, v55, v151, s[60:61]                 // 000000007930: D1000037 00F32F37
	s_branch label_0EF4                                        // 000000007938: BF820020

000000000000793c <label_0ED4>:
	v_mov_b32_e32 v52, v151                                    // 00000000793C: 7E680397
	v_mov_b32_e32 v53, v151                                    // 000000007940: 7E6A0397
	v_mov_b32_e32 v54, v151                                    // 000000007944: 7E6C0397
	v_mov_b32_e32 v55, v151                                    // 000000007948: 7E6E0397
	s_branch label_0EF4                                        // 00000000794C: BF82001B

0000000000007950 <label_0ED9>:
	v_cndmask_b32_e64 v56, v56, v151, s[60:61]                 // 000000007950: D1000038 00F32F38
	s_lshl_b32 s60, s60, 1                                     // 000000007958: 8E3C813C
	s_lshl_b32 s61, s61, 1                                     // 00000000795C: 8E3D813D
	s_and_b32 s60, 0xfffeffff, s60                             // 000000007960: 863C3CFF FFFEFFFF
	s_and_b32 s61, 0xfffeffff, s61                             // 000000007968: 863D3DFF FFFEFFFF
	v_cndmask_b32_e64 v57, v57, v151, s[60:61]                 // 000000007970: D1000039 00F32F39
	s_lshl_b32 s60, s60, 1                                     // 000000007978: 8E3C813C
	s_lshl_b32 s61, s61, 1                                     // 00000000797C: 8E3D813D
	s_and_b32 s60, 0xfffeffff, s60                             // 000000007980: 863C3CFF FFFEFFFF
	s_and_b32 s61, 0xfffeffff, s61                             // 000000007988: 863D3DFF FFFEFFFF
	v_cndmask_b32_e64 v58, v58, v151, s[60:61]                 // 000000007990: D100003A 00F32F3A
	s_lshl_b32 s60, s60, 1                                     // 000000007998: 8E3C813C
	s_lshl_b32 s61, s61, 1                                     // 00000000799C: 8E3D813D
	s_and_b32 s60, 0xfffeffff, s60                             // 0000000079A0: 863C3CFF FFFEFFFF
	s_and_b32 s61, 0xfffeffff, s61                             // 0000000079A8: 863D3DFF FFFEFFFF
	v_cndmask_b32_e64 v59, v59, v151, s[60:61]                 // 0000000079B0: D100003B 00F32F3B
	s_branch label_0EF9                                        // 0000000079B8: BF820005

00000000000079bc <label_0EF4>:
	v_mov_b32_e32 v56, v151                                    // 0000000079BC: 7E700397
	v_mov_b32_e32 v57, v151                                    // 0000000079C0: 7E720397
	v_mov_b32_e32 v58, v151                                    // 0000000079C4: 7E740397
	v_mov_b32_e32 v59, v151                                    // 0000000079C8: 7E760397
	s_branch label_0EF9                                        // 0000000079CC: BF820000

00000000000079d0 <label_0EF9>:
	s_cmp_lt_i32 s100, 0xc0                                    // 0000000079D0: BF04FF64 000000C0
	s_cbranch_scc0 label_0F4E                                  // 0000000079D8: BF84004D
	s_cmp_le_i32 s100, 64                                      // 0000000079DC: BF05C064
	s_cbranch_scc1 label_0F05                                  // 0000000079E0: BF850007
	s_cmp_le_i32 s100, 0x80                                    // 0000000079E4: BF05FF64 00000080
	s_cbranch_scc1 label_0F1D                                  // 0000000079EC: BF850017
	s_cmp_lt_i32 s100, 0xc0                                    // 0000000079F0: BF04FF64 000000C0
	s_cbranch_scc1 label_0F35                                  // 0000000079F8: BF85002C
	s_branch label_0F4E                                        // 0000000079FC: BF820044

0000000000007a00 <label_0F05>:
	s_mov_b32 s60, 0                                           // 000000007A00: BEBC0080
	v_and_b32_e32 v28, 15, v0                                  // 000000007A04: 2638008F
	v_add_u32_e64 v28, v28, s60                                // 000000007A08: D134001C 0000791C
	v_mul_i32_i24_e64 v29, s46, 16                             // 000000007A10: D106001D 0001202E
	v_add_u32_e32 v28, v28, v29                                // 000000007A18: 68383B1C
	v_cmp_lt_u32_e64 s[60:61], v28, s100                       // 000000007A1C: D0C9003C 0000C91C
	s_nop 1                                                    // 000000007A24: BF800001
	v_cndmask_b32_e64 v48, v151, v48, s[60:61]                 // 000000007A28: D1000030 00F26197
	v_cndmask_b32_e64 v49, v151, v49, s[60:61]                 // 000000007A30: D1000031 00F26397
	v_cndmask_b32_e64 v50, v151, v50, s[60:61]                 // 000000007A38: D1000032 00F26597
	v_cndmask_b32_e64 v51, v151, v51, s[60:61]                 // 000000007A40: D1000033 00F26797
	s_branch label_0F30                                        // 000000007A48: BF820013

0000000000007a4c <label_0F1D>:
	s_mov_b32 s60, 64                                          // 000000007A4C: BEBC00C0
	v_and_b32_e32 v28, 15, v0                                  // 000000007A50: 2638008F
	v_add_u32_e64 v28, v28, s60                                // 000000007A54: D134001C 0000791C
	v_mul_i32_i24_e64 v29, s46, 16                             // 000000007A5C: D106001D 0001202E
	v_add_u32_e32 v28, v28, v29                                // 000000007A64: 68383B1C
	v_cmp_lt_u32_e64 s[60:61], v28, s100                       // 000000007A68: D0C9003C 0000C91C
	s_nop 1                                                    // 000000007A70: BF800001
	v_cndmask_b32_e64 v52, v151, v52, s[60:61]                 // 000000007A74: D1000034 00F26997
	v_cndmask_b32_e64 v53, v151, v53, s[60:61]                 // 000000007A7C: D1000035 00F26B97
	v_cndmask_b32_e64 v54, v151, v54, s[60:61]                 // 000000007A84: D1000036 00F26D97
	v_cndmask_b32_e64 v55, v151, v55, s[60:61]                 // 000000007A8C: D1000037 00F26F97
	s_branch label_0F49                                        // 000000007A94: BF820019

0000000000007a98 <label_0F30>:
	v_mov_b32_e32 v52, v151                                    // 000000007A98: 7E680397
	v_mov_b32_e32 v53, v151                                    // 000000007A9C: 7E6A0397
	v_mov_b32_e32 v54, v151                                    // 000000007AA0: 7E6C0397
	v_mov_b32_e32 v55, v151                                    // 000000007AA4: 7E6E0397
	s_branch label_0F49                                        // 000000007AA8: BF820014

0000000000007aac <label_0F35>:
	s_mov_b32 s60, 0x80                                        // 000000007AAC: BEBC00FF 00000080
	v_and_b32_e32 v28, 15, v0                                  // 000000007AB4: 2638008F
	v_add_u32_e64 v28, v28, s60                                // 000000007AB8: D134001C 0000791C
	v_mul_i32_i24_e64 v29, s46, 16                             // 000000007AC0: D106001D 0001202E
	v_add_u32_e32 v28, v28, v29                                // 000000007AC8: 68383B1C
	v_cmp_lt_u32_e64 s[60:61], v28, s100                       // 000000007ACC: D0C9003C 0000C91C
	s_nop 1                                                    // 000000007AD4: BF800001
	v_cndmask_b32_e64 v56, v151, v56, s[60:61]                 // 000000007AD8: D1000038 00F27197
	v_cndmask_b32_e64 v57, v151, v57, s[60:61]                 // 000000007AE0: D1000039 00F27397
	v_cndmask_b32_e64 v58, v151, v58, s[60:61]                 // 000000007AE8: D100003A 00F27597
	v_cndmask_b32_e64 v59, v151, v59, s[60:61]                 // 000000007AF0: D100003B 00F27797
	s_branch label_0F4E                                        // 000000007AF8: BF820005

0000000000007afc <label_0F49>:
	v_mov_b32_e32 v56, v151                                    // 000000007AFC: 7E700397
	v_mov_b32_e32 v57, v151                                    // 000000007B00: 7E720397
	v_mov_b32_e32 v58, v151                                    // 000000007B04: 7E740397
	v_mov_b32_e32 v59, v151                                    // 000000007B08: 7E760397
	s_branch label_0F4E                                        // 000000007B0C: BF820000

0000000000007b10 <label_0F4E>:
	s_addk_i32 s74, 0x1                                        // 000000007B10: B74A0001
	s_waitcnt lgkmcnt(8)                                       // 000000007B14: BF8CC87F
	s_barrier                                                  // 000000007B18: BF8A0000
	v_mfma_f32_16x16x16_bf16 v[72:75], v[92:93], a[96:97], 0   // 000000007B1C: D3E10048 1202C15C
	ds_read_b128 a[144:147], v12 offset:4352                   // 000000007B24: DBFE1100 9000000C
	ds_read_b128 a[148:151], v12 offset:4864                   // 000000007B2C: DBFE1300 9400000C
	v_mfma_f32_16x16x16_bf16 v[72:75], v[94:95], a[98:99], v[72:75]// 000000007B34: D3E10048 1522C55E
	v_fma_f32 v48, v48, s57, -v124                             // 000000007B3C: D1CB0030 85F07330
	v_fma_f32 v49, v49, s57, -v125                             // 000000007B44: D1CB0031 85F47331
	v_fma_f32 v50, v50, s57, -v126                             // 000000007B4C: D1CB0032 85F87332
	v_mfma_f32_16x16x16_bf16 v[72:75], v[96:97], a[100:101], v[72:75]// 000000007B54: D3E10048 1522C960
	v_fma_f32 v51, v51, s57, -v127                             // 000000007B5C: D1CB0033 85FC7333
	v_fma_f32 v52, v52, s57, -v124                             // 000000007B64: D1CB0034 85F07334
	v_fma_f32 v53, v53, s57, -v125                             // 000000007B6C: D1CB0035 85F47335
	v_mfma_f32_16x16x16_bf16 v[72:75], v[98:99], a[102:103], v[72:75]// 000000007B74: D3E10048 1522CD62
	v_fma_f32 v54, v54, s57, -v126                             // 000000007B7C: D1CB0036 85F87336
	v_fma_f32 v55, v55, s57, -v127                             // 000000007B84: D1CB0037 85FC7337
	v_fma_f32 v56, v56, s57, -v124                             // 000000007B8C: D1CB0038 85F07338
	v_mfma_f32_16x16x16_bf16 v[72:75], v[100:101], a[104:105], v[72:75]// 000000007B94: D3E10048 1522D164
	ds_read_b128 a[152:155], v12 offset:6528                   // 000000007B9C: DBFE1980 9800000C
	ds_read_b128 a[156:159], v12 offset:7040                   // 000000007BA4: DBFE1B80 9C00000C
	v_mfma_f32_16x16x16_bf16 v[72:75], v[102:103], a[106:107], v[72:75]// 000000007BAC: D3E10048 1522D566
	v_fma_f32 v57, v57, s57, -v125                             // 000000007BB4: D1CB0039 85F47339
	v_fma_f32 v58, v58, s57, -v126                             // 000000007BBC: D1CB003A 85F8733A
	v_fma_f32 v59, v59, s57, -v127                             // 000000007BC4: D1CB003B 85FC733B
	v_mfma_f32_16x16x16_bf16 v[72:75], v[104:105], a[108:109], v[72:75]// 000000007BCC: D3E10048 1522D968
	v_exp_f32_e32 v48, v48                                     // 000000007BD4: 7E604130
	v_mfma_f32_16x16x16_bf16 v[72:75], v[106:107], a[110:111], v[72:75]// 000000007BD8: D3E10048 1522DD6A
	v_exp_f32_e32 v49, v49                                     // 000000007BE0: 7E624131
	v_mfma_f32_16x16x16_bf16 v[76:79], v[92:93], a[112:113], 0 // 000000007BE4: D3E1004C 1202E15C
	ds_read_b64 v[136:137], v19 offset:24320                   // 000000007BEC: D8EC5F00 88000013
	ds_read_b64 v[138:139], v19 offset:26368                   // 000000007BF4: D8EC6700 8A000013
	v_mfma_f32_16x16x16_bf16 v[76:79], v[94:95], a[114:115], v[76:79]// 000000007BFC: D3E1004C 1532E55E
	v_exp_f32_e32 v50, v50                                     // 000000007C04: 7E644132
	v_mfma_f32_16x16x16_bf16 v[76:79], v[96:97], a[116:117], v[76:79]// 000000007C08: D3E1004C 1532E960
	ds_read_b64 v[140:141], v19 offset:28416                   // 000000007C10: D8EC6F00 8C000013
	ds_read_b64 v[142:143], v19 offset:30464                   // 000000007C18: D8EC7700 8E000013
	v_mfma_f32_16x16x16_bf16 v[76:79], v[98:99], a[118:119], v[76:79]// 000000007C20: D3E1004C 1532ED62
	v_exp_f32_e32 v51, v51                                     // 000000007C28: 7E664133
	v_mfma_f32_16x16x16_bf16 v[76:79], v[100:101], a[120:121], v[76:79]// 000000007C2C: D3E1004C 1532F164
	v_exp_f32_e32 v52, v52                                     // 000000007C34: 7E684134
	v_mfma_f32_16x16x16_bf16 v[76:79], v[102:103], a[122:123], v[76:79]// 000000007C38: D3E1004C 1532F566
	v_exp_f32_e32 v53, v53                                     // 000000007C40: 7E6A4135
	v_mfma_f32_16x16x16_bf16 v[76:79], v[104:105], a[124:125], v[76:79]// 000000007C44: D3E1004C 1532F968
	v_exp_f32_e32 v54, v54                                     // 000000007C4C: 7E6C4136
	v_mfma_f32_16x16x16_bf16 v[76:79], v[106:107], a[126:127], v[76:79]// 000000007C50: D3E1004C 1532FD6A
	v_exp_f32_e32 v55, v55                                     // 000000007C58: 7E6E4137
	v_mfma_f32_16x16x16_bf16 v[80:83], v[92:93], a[128:129], 0 // 000000007C5C: D3E10050 1203015C
	v_exp_f32_e32 v56, v56                                     // 000000007C64: 7E704138
	v_mfma_f32_16x16x16_bf16 v[80:83], v[94:95], a[130:131], v[80:83]// 000000007C68: D3E10050 1543055E
	v_exp_f32_e32 v57, v57                                     // 000000007C70: 7E724139
	v_mfma_f32_16x16x16_bf16 v[80:83], v[96:97], a[132:133], v[80:83]// 000000007C74: D3E10050 15430960
	v_exp_f32_e32 v58, v58                                     // 000000007C7C: 7E74413A
	v_mfma_f32_16x16x16_bf16 v[80:83], v[98:99], a[134:135], v[80:83]// 000000007C80: D3E10050 15430D62
	v_exp_f32_e32 v59, v59                                     // 000000007C88: 7E76413B
	v_mfma_f32_16x16x16_bf16 v[80:83], v[100:101], a[136:137], v[80:83]// 000000007C8C: D3E10050 15431164
	v_cmp_u_f32_e64 s[78:79], v48, v48                         // 000000007C94: D048004E 00026130
	v_add3_u32 v248, v48, v251, 1                              // 000000007C9C: D1FF00F8 0207F730
	v_cndmask_b32_e64 v28, v248, v250, s[78:79]                // 000000007CA4: D100001C 013BF5F8
	v_cmp_u_f32_e64 s[78:79], v49, v49                         // 000000007CAC: D048004E 00026331
	v_add3_u32 v248, v49, v251, 1                              // 000000007CB4: D1FF00F8 0207F731
	v_cndmask_b32_e64 v29, v248, v250, s[78:79]                // 000000007CBC: D100001D 013BF5F8
	v_perm_b32 v144, v29, v28, s64                             // 000000007CC4: D1ED0090 0102391D
	v_cmp_u_f32_e64 s[78:79], v50, v50                         // 000000007CCC: D048004E 00026532
	v_add3_u32 v248, v50, v251, 1                              // 000000007CD4: D1FF00F8 0207F732
	v_cndmask_b32_e64 v28, v248, v250, s[78:79]                // 000000007CDC: D100001C 013BF5F8
	v_cmp_u_f32_e64 s[78:79], v51, v51                         // 000000007CE4: D048004E 00026733
	v_add3_u32 v248, v51, v251, 1                              // 000000007CEC: D1FF00F8 0207F733
	v_cndmask_b32_e64 v29, v248, v250, s[78:79]                // 000000007CF4: D100001D 013BF5F8
	v_perm_b32 v145, v29, v28, s64                             // 000000007CFC: D1ED0091 0102391D
	v_cmp_u_f32_e64 s[78:79], v52, v52                         // 000000007D04: D048004E 00026934
	v_add3_u32 v248, v52, v251, 1                              // 000000007D0C: D1FF00F8 0207F734
	v_cndmask_b32_e64 v28, v248, v250, s[78:79]                // 000000007D14: D100001C 013BF5F8
	v_cmp_u_f32_e64 s[78:79], v53, v53                         // 000000007D1C: D048004E 00026B35
	v_add3_u32 v248, v53, v251, 1                              // 000000007D24: D1FF00F8 0207F735
	v_cndmask_b32_e64 v29, v248, v250, s[78:79]                // 000000007D2C: D100001D 013BF5F8
	v_perm_b32 v146, v29, v28, s64                             // 000000007D34: D1ED0092 0102391D
	v_mfma_f32_16x16x16_bf16 v[80:83], v[102:103], a[138:139], v[80:83]// 000000007D3C: D3E10050 15431566
	v_cmp_u_f32_e64 s[78:79], v54, v54                         // 000000007D44: D048004E 00026D36
	v_add3_u32 v248, v54, v251, 1                              // 000000007D4C: D1FF00F8 0207F736
	v_cndmask_b32_e64 v28, v248, v250, s[78:79]                // 000000007D54: D100001C 013BF5F8
	v_cmp_u_f32_e64 s[78:79], v55, v55                         // 000000007D5C: D048004E 00026F37
	v_add3_u32 v248, v55, v251, 1                              // 000000007D64: D1FF00F8 0207F737
	v_cndmask_b32_e64 v29, v248, v250, s[78:79]                // 000000007D6C: D100001D 013BF5F8
	v_perm_b32 v147, v29, v28, s64                             // 000000007D74: D1ED0093 0102391D
	v_cmp_u_f32_e64 s[78:79], v56, v56                         // 000000007D7C: D048004E 00027138
	v_add3_u32 v248, v56, v251, 1                              // 000000007D84: D1FF00F8 0207F738
	v_cndmask_b32_e64 v28, v248, v250, s[78:79]                // 000000007D8C: D100001C 013BF5F8
	v_cmp_u_f32_e64 s[78:79], v57, v57                         // 000000007D94: D048004E 00027339
	v_add3_u32 v248, v57, v251, 1                              // 000000007D9C: D1FF00F8 0207F739
	v_cndmask_b32_e64 v29, v248, v250, s[78:79]                // 000000007DA4: D100001D 013BF5F8
	v_perm_b32 v148, v29, v28, s64                             // 000000007DAC: D1ED0094 0102391D
	v_cmp_u_f32_e64 s[78:79], v58, v58                         // 000000007DB4: D048004E 0002753A
	v_add3_u32 v248, v58, v251, 1                              // 000000007DBC: D1FF00F8 0207F73A
	v_cndmask_b32_e64 v28, v248, v250, s[78:79]                // 000000007DC4: D100001C 013BF5F8
	v_cmp_u_f32_e64 s[78:79], v59, v59                         // 000000007DCC: D048004E 0002773B
	v_add3_u32 v248, v59, v251, 1                              // 000000007DD4: D1FF00F8 0207F73B
	v_cndmask_b32_e64 v29, v248, v250, s[78:79]                // 000000007DDC: D100001D 013BF5F8
	v_perm_b32 v149, v29, v28, s64                             // 000000007DE4: D1ED0095 0102391D
	v_mfma_f32_16x16x16_bf16 v[80:83], v[104:105], a[140:141], v[80:83]// 000000007DEC: D3E10050 15431968
	v_add_u32_e32 v7, s66, v7                                  // 000000007DF4: 680E0E42
	v_add_u32_e32 v8, s66, v8                                  // 000000007DF8: 68101042
	v_mfma_f32_16x16x16_bf16 v[80:83], v[106:107], a[142:143], v[80:83]// 000000007DFC: D3E10050 15431D6A
	s_waitcnt lgkmcnt(0)                                       // 000000007E04: BF8CC07F
	s_barrier                                                  // 000000007E08: BF8A0000
	v_mfma_f32_16x16x16_bf16 v[152:155], v[108:109], v[144:145], v[152:155]// 000000007E0C: D3E10098 0663216C
	v_subrev_f32_dpp v72, v150, v72 quad_perm:[0,0,0,0] row_mask:0xf bank_mask:0xf// 000000007E14: 069090FA FF000096
	v_subrev_f32_dpp v73, v150, v73 quad_perm:[1,1,1,1] row_mask:0xf bank_mask:0xf// 000000007E1C: 069292FA FF005596
	v_subrev_f32_dpp v74, v150, v74 quad_perm:[2,2,2,2] row_mask:0xf bank_mask:0xf// 000000007E24: 069494FA FF00AA96
	v_mfma_f32_16x16x16_bf16 v[156:159], v[110:111], v[144:145], v[156:159]// 000000007E2C: D3E1009C 0673216E
	v_subrev_f32_dpp v75, v150, v75 quad_perm:[3,3,3,3] row_mask:0xf bank_mask:0xf// 000000007E34: 069696FA FF00FF96
	v_subrev_f32_dpp v76, v150, v76 quad_perm:[0,0,0,0] row_mask:0xf bank_mask:0xf// 000000007E3C: 069898FA FF000096
	v_subrev_f32_dpp v77, v150, v77 quad_perm:[1,1,1,1] row_mask:0xf bank_mask:0xf// 000000007E44: 069A9AFA FF005596
	v_mfma_f32_16x16x16_bf16 v[160:163], v[112:113], v[144:145], v[160:163]// 000000007E4C: D3E100A0 06832170
	v_mul_f32_e32 v72, v48, v72                                // 000000007E54: 0A909130
	v_mul_f32_e32 v73, v49, v73                                // 000000007E58: 0A929331
	v_mul_f32_e32 v74, v50, v74                                // 000000007E5C: 0A949532
	v_mfma_f32_16x16x16_bf16 v[164:167], v[114:115], v[144:145], v[164:167]// 000000007E60: D3E100A4 06932172
	v_mul_f32_e32 v75, v51, v75                                // 000000007E68: 0A969733
	v_mul_f32_e32 v76, v52, v76                                // 000000007E6C: 0A989934
	v_mul_f32_e32 v77, v53, v77                                // 000000007E70: 0A9A9B35
	v_mfma_f32_16x16x16_bf16 v[168:171], v[116:117], v[144:145], v[168:171]// 000000007E74: D3E100A8 06A32174
	v_cmp_u_f32_e64 s[78:79], v72, v72                         // 000000007E7C: D048004E 00029148
	v_add3_u32 v248, v72, v251, 1                              // 000000007E84: D1FF00F8 0207F748
	v_cndmask_b32_e64 v28, v248, v250, s[78:79]                // 000000007E8C: D100001C 013BF5F8
	v_cmp_u_f32_e64 s[78:79], v73, v73                         // 000000007E94: D048004E 00029349
	v_add3_u32 v248, v73, v251, 1                              // 000000007E9C: D1FF00F8 0207F749
	v_cndmask_b32_e64 v29, v248, v250, s[78:79]                // 000000007EA4: D100001D 013BF5F8
	v_perm_b32 v72, v29, v28, s64                              // 000000007EAC: D1ED0048 0102391D
	v_cmp_u_f32_e64 s[78:79], v74, v74                         // 000000007EB4: D048004E 0002954A
	v_add3_u32 v248, v74, v251, 1                              // 000000007EBC: D1FF00F8 0207F74A
	v_cndmask_b32_e64 v28, v248, v250, s[78:79]                // 000000007EC4: D100001C 013BF5F8
	v_cmp_u_f32_e64 s[78:79], v75, v75                         // 000000007ECC: D048004E 0002974B
	v_add3_u32 v248, v75, v251, 1                              // 000000007ED4: D1FF00F8 0207F74B
	v_cndmask_b32_e64 v29, v248, v250, s[78:79]                // 000000007EDC: D100001D 013BF5F8
	v_perm_b32 v73, v29, v28, s64                              // 000000007EE4: D1ED0049 0102391D
	v_cmp_u_f32_e64 s[78:79], v76, v76                         // 000000007EEC: D048004E 0002994C
	v_add3_u32 v248, v76, v251, 1                              // 000000007EF4: D1FF00F8 0207F74C
	v_cndmask_b32_e64 v28, v248, v250, s[78:79]                // 000000007EFC: D100001C 013BF5F8
	v_cmp_u_f32_e64 s[78:79], v77, v77                         // 000000007F04: D048004E 00029B4D
	v_add3_u32 v248, v77, v251, 1                              // 000000007F0C: D1FF00F8 0207F74D
	v_cndmask_b32_e64 v29, v248, v250, s[78:79]                // 000000007F14: D100001D 013BF5F8
	v_perm_b32 v74, v29, v28, s64                              // 000000007F1C: D1ED004A 0102391D
	v_mfma_f32_16x16x16_bf16 v[172:175], v[118:119], v[144:145], v[172:175]// 000000007F24: D3E100AC 06B32176
	v_mov_b32_dpp v16, v72 quad_perm:[1,0,3,2] row_mask:0xf bank_mask:0xf// 000000007F2C: 7E2002FA FF00B148
	v_perm_b32 v48, v16, v72, v15                              // 000000007F34: D1ED0030 043E9110
	v_mov_b32_dpp v16, v73 quad_perm:[1,0,3,2] row_mask:0xf bank_mask:0xf// 000000007F3C: 7E2002FA FF00B149
	v_mfma_f32_16x16x16_bf16 v[176:179], v[120:121], v[144:145], v[176:179]// 000000007F44: D3E100B0 06C32178
	v_perm_b32 v49, v16, v73, v15                              // 000000007F4C: D1ED0031 043E9310
	v_mov_b32_dpp v16, v74 quad_perm:[1,0,3,2] row_mask:0xf bank_mask:0xf// 000000007F54: 7E2002FA FF00B14A
	v_perm_b32 v50, v16, v74, v15                              // 000000007F5C: D1ED0032 043E9510
	v_mfma_f32_16x16x16_bf16 v[180:183], v[122:123], v[144:145], v[180:183]// 000000007F64: D3E100B4 06D3217A
	ds_write_b32 v18, v48 offset:17408                         // 000000007F6C: D81A4400 00003012
	v_mfma_f32_16x16x16_bf16 v[184:187], v[108:109], v[146:147], v[184:187]// 000000007F74: D3E100B8 06E3256C
	v_subrev_f32_dpp v78, v150, v78 quad_perm:[2,2,2,2] row_mask:0xf bank_mask:0xf// 000000007F7C: 069C9CFA FF00AA96
	v_subrev_f32_dpp v79, v150, v79 quad_perm:[3,3,3,3] row_mask:0xf bank_mask:0xf// 000000007F84: 069E9EFA FF00FF96
	v_subrev_f32_dpp v80, v150, v80 quad_perm:[0,0,0,0] row_mask:0xf bank_mask:0xf// 000000007F8C: 06A0A0FA FF000096
	v_mfma_f32_16x16x16_bf16 v[188:191], v[110:111], v[146:147], v[188:191]// 000000007F94: D3E100BC 06F3256E
	ds_write_b32 v18, v49 offset:17952                         // 000000007F9C: D81A4620 00003112
	v_mfma_f32_16x16x16_bf16 v[192:195], v[112:113], v[146:147], v[192:195]// 000000007FA4: D3E100C0 07032570
	v_subrev_f32_dpp v81, v150, v81 quad_perm:[1,1,1,1] row_mask:0xf bank_mask:0xf// 000000007FAC: 06A2A2FA FF005596
	v_subrev_f32_dpp v82, v150, v82 quad_perm:[2,2,2,2] row_mask:0xf bank_mask:0xf// 000000007FB4: 06A4A4FA FF00AA96
	v_subrev_f32_dpp v83, v150, v83 quad_perm:[3,3,3,3] row_mask:0xf bank_mask:0xf// 000000007FBC: 06A6A6FA FF00FF96
	v_mfma_f32_16x16x16_bf16 v[196:199], v[114:115], v[146:147], v[196:199]// 000000007FC4: D3E100C4 07132572
	ds_write_b32 v18, v50 offset:19712                         // 000000007FCC: D81A4D00 00003212
	v_mfma_f32_16x16x16_bf16 v[200:203], v[116:117], v[146:147], v[200:203]// 000000007FD4: D3E100C8 07232574
	v_mul_f32_e32 v78, v54, v78                                // 000000007FDC: 0A9C9D36
	v_mul_f32_e32 v79, v55, v79                                // 000000007FE0: 0A9E9F37
	v_mul_f32_e32 v80, v56, v80                                // 000000007FE4: 0AA0A138
	v_mfma_f32_16x16x16_bf16 v[204:207], v[118:119], v[146:147], v[204:207]// 000000007FE8: D3E100CC 07332576
	v_mul_f32_e32 v81, v57, v81                                // 000000007FF0: 0AA2A339
	v_mul_f32_e32 v82, v58, v82                                // 000000007FF4: 0AA4A53A
	v_mul_f32_e32 v83, v59, v83                                // 000000007FF8: 0AA6A73B
	v_mfma_f32_16x16x16_bf16 v[208:211], v[120:121], v[146:147], v[208:211]// 000000007FFC: D3E100D0 07432578
	v_cmp_u_f32_e64 s[78:79], v78, v78                         // 000000008004: D048004E 00029D4E
	v_add3_u32 v248, v78, v251, 1                              // 00000000800C: D1FF00F8 0207F74E
	v_cndmask_b32_e64 v28, v248, v250, s[78:79]                // 000000008014: D100001C 013BF5F8
	v_cmp_u_f32_e64 s[78:79], v79, v79                         // 00000000801C: D048004E 00029F4F
	v_add3_u32 v248, v79, v251, 1                              // 000000008024: D1FF00F8 0207F74F
	v_cndmask_b32_e64 v29, v248, v250, s[78:79]                // 00000000802C: D100001D 013BF5F8
	v_perm_b32 v75, v29, v28, s64                              // 000000008034: D1ED004B 0102391D
	v_cmp_u_f32_e64 s[78:79], v80, v80                         // 00000000803C: D048004E 0002A150
	v_add3_u32 v248, v80, v251, 1                              // 000000008044: D1FF00F8 0207F750
	v_cndmask_b32_e64 v28, v248, v250, s[78:79]                // 00000000804C: D100001C 013BF5F8
	v_cmp_u_f32_e64 s[78:79], v81, v81                         // 000000008054: D048004E 0002A351
	v_add3_u32 v248, v81, v251, 1                              // 00000000805C: D1FF00F8 0207F751
	v_cndmask_b32_e64 v29, v248, v250, s[78:79]                // 000000008064: D100001D 013BF5F8
	v_perm_b32 v76, v29, v28, s64                              // 00000000806C: D1ED004C 0102391D
	v_cmp_u_f32_e64 s[78:79], v82, v82                         // 000000008074: D048004E 0002A552
	v_add3_u32 v248, v82, v251, 1                              // 00000000807C: D1FF00F8 0207F752
	v_cndmask_b32_e64 v28, v248, v250, s[78:79]                // 000000008084: D100001C 013BF5F8
	v_cmp_u_f32_e64 s[78:79], v83, v83                         // 00000000808C: D048004E 0002A753
	v_add3_u32 v248, v83, v251, 1                              // 000000008094: D1FF00F8 0207F753
	v_cndmask_b32_e64 v29, v248, v250, s[78:79]                // 00000000809C: D100001D 013BF5F8
	v_perm_b32 v77, v29, v28, s64                              // 0000000080A4: D1ED004D 0102391D
	v_mfma_f32_16x16x16_bf16 v[212:215], v[122:123], v[146:147], v[212:215]// 0000000080AC: D3E100D4 0753257A
	v_mov_b32_dpp v16, v75 quad_perm:[1,0,3,2] row_mask:0xf bank_mask:0xf// 0000000080B4: 7E2002FA FF00B14B
	v_perm_b32 v51, v16, v75, v15                              // 0000000080BC: D1ED0033 043E9710
	v_mov_b32_dpp v16, v76 quad_perm:[1,0,3,2] row_mask:0xf bank_mask:0xf// 0000000080C4: 7E2002FA FF00B14C
	v_mfma_f32_16x16x16_bf16 v[216:219], v[108:109], v[148:149], v[216:219]// 0000000080CC: D3E100D8 0763296C
	v_perm_b32 v52, v16, v76, v15                              // 0000000080D4: D1ED0034 043E9910
	v_mov_b32_dpp v16, v77 quad_perm:[1,0,3,2] row_mask:0xf bank_mask:0xf// 0000000080DC: 7E2002FA FF00B14D
	v_perm_b32 v53, v16, v77, v15                              // 0000000080E4: D1ED0035 043E9B10
	v_mfma_f32_16x16x16_bf16 v[220:223], v[110:111], v[148:149], v[220:223]// 0000000080EC: D3E100DC 0773296E
	ds_write_b32 v18, v51 offset:20256                         // 0000000080F4: D81A4F20 00003312
	v_mfma_f32_16x16x16_bf16 v[224:227], v[112:113], v[148:149], v[224:227]// 0000000080FC: D3E100E0 07832970
	v_mfma_f32_16x16x16_bf16 v[228:231], v[114:115], v[148:149], v[228:231]// 000000008104: D3E100E4 07932972
	ds_write_b32 v18, v52 offset:22016                         // 00000000810C: D81A5600 00003412
	ds_write_b32 v18, v53 offset:22560                         // 000000008114: D81A5820 00003512
	v_mfma_f32_16x16x16_bf16 v[232:235], v[116:117], v[148:149], v[232:235]// 00000000811C: D3E100E8 07A32974
	v_mfma_f32_16x16x16_bf16 v[236:239], v[118:119], v[148:149], v[236:239]// 000000008124: D3E100EC 07B32976
	ds_write_b32 v13, v84 offset:4352                          // 00000000812C: D81A1100 0000540D
	ds_write_b32 v13, v85 offset:5408                          // 000000008134: D81A1520 0000550D
	v_mfma_f32_16x16x16_bf16 v[240:243], v[120:121], v[148:149], v[240:243]// 00000000813C: D3E100F0 07C32978
	s_nop 0                                                    // 000000008144: BF800000
	s_nop 0                                                    // 000000008148: BF800000
	s_nop 0                                                    // 00000000814C: BF800000
	v_mfma_f32_16x16x16_bf16 v[244:247], v[122:123], v[148:149], v[244:247]// 000000008150: D3E100F4 07D3297A
	ds_write_b32 v13, v86 offset:4480                          // 000000008158: D81A1180 0000560D
	ds_write_b32 v13, v87 offset:5536                          // 000000008160: D81A15A0 0000570D
	s_barrier                                                  // 000000008168: BF8A0000
	v_mfma_f32_16x16x16_bf16 a[160:163], a[144:145], v[72:73], a[160:163]// 00000000816C: D3E180A0 0E829190
	buffer_atomic_add_f32 v136, v7, s[32:35], 0 offen          // 000000008174: E1341000 80088807
	v_mfma_f32_16x16x16_bf16 a[164:167], a[146:147], v[72:73], a[164:167]// 00000000817C: D3E180A4 0E929192
	ds_read_b32 v124, v21 offset:50688                         // 000000008184: D86CC600 7C000015
	ds_read_b32 v150, v21 offset:50944                         // 00000000818C: D86CC700 96000015
	v_mfma_f32_16x16x16_bf16 a[168:171], a[148:149], v[72:73], a[168:171]// 000000008194: D3E180A8 0EA29194
	s_waitcnt lgkmcnt(6)                                       // 00000000819C: BF8CC67F
	s_barrier                                                  // 0000000081A0: BF8A0000
	v_mfma_f32_16x16x16_bf16 a[172:175], a[150:151], v[72:73], a[172:175]// 0000000081A4: D3E180AC 0EB29196
	ds_read_b128 v[48:51], v17 offset:17408                    // 0000000081AC: D9FE4400 30000011
	v_mfma_f32_16x16x16_bf16 a[176:179], a[152:153], v[72:73], a[176:179]// 0000000081B4: D3E180B0 0EC29198
	v_mfma_f32_16x16x16_bf16 a[180:183], a[154:155], v[72:73], a[180:183]// 0000000081BC: D3E180B4 0ED2919A
	ds_read_b128 v[52:55], v17 offset:18560                    // 0000000081C4: D9FE4880 34000011
	v_mfma_f32_16x16x16_bf16 a[184:187], a[156:157], v[72:73], a[184:187]// 0000000081CC: D3E180B8 0EE2919C
	buffer_atomic_add_f32 v137, v8, s[32:35], 0 offen          // 0000000081D4: E1341000 80088908
	v_mfma_f32_16x16x16_bf16 a[188:191], a[158:159], v[72:73], a[188:191]// 0000000081DC: D3E180BC 0EF2919E
	ds_read_b128 v[56:59], v17 offset:19712                    // 0000000081E4: D9FE4D00 38000011
	v_mfma_f32_16x16x16_bf16 a[192:195], a[144:145], v[74:75], a[192:195]// 0000000081EC: D3E180C0 0F029590
	v_mfma_f32_16x16x16_bf16 a[196:199], a[146:147], v[74:75], a[196:199]// 0000000081F4: D3E180C4 0F129592
	ds_read_b128 v[60:63], v17 offset:20864                    // 0000000081FC: D9FE5180 3C000011
	v_mfma_f32_16x16x16_bf16 a[200:203], a[148:149], v[74:75], a[200:203]// 000000008204: D3E180C8 0F229594
	v_mfma_f32_16x16x16_bf16 a[204:207], a[150:151], v[74:75], a[204:207]// 00000000820C: D3E180CC 0F329596
	ds_read_b128 v[64:67], v17 offset:22016                    // 000000008214: D9FE5600 40000011
	v_mfma_f32_16x16x16_bf16 a[208:211], a[152:153], v[74:75], a[208:211]// 00000000821C: D3E180D0 0F429598
	buffer_atomic_add_f32 v138, v7, s[32:35], 0 offen offset:128// 000000008224: E1341080 80088A07
	v_mfma_f32_16x16x16_bf16 a[212:215], a[154:155], v[74:75], a[212:215]// 00000000822C: D3E180D4 0F52959A
	ds_read_b128 v[68:71], v17 offset:23168                    // 000000008234: D9FE5A80 44000011
	v_mfma_f32_16x16x16_bf16 a[216:219], a[156:157], v[74:75], a[216:219]// 00000000823C: D3E180D8 0F62959C
	v_mfma_f32_16x16x16_bf16 a[220:223], a[158:159], v[74:75], a[220:223]// 000000008244: D3E180DC 0F72959E
	ds_write_b32 v13, v88 offset:13056                         // 00000000824C: D81A3300 0000580D
	v_mfma_f32_16x16x16_bf16 a[224:227], a[144:145], v[76:77], a[224:227]// 000000008254: D3E180E0 0F829990
	v_mfma_f32_16x16x16_bf16 a[228:231], a[146:147], v[76:77], a[228:231]// 00000000825C: D3E180E4 0F929992
	ds_write_b32 v13, v89 offset:14112                         // 000000008264: D81A3720 0000590D
	v_mfma_f32_16x16x16_bf16 a[232:235], a[148:149], v[76:77], a[232:235]// 00000000826C: D3E180E8 0FA29994
	buffer_atomic_add_f32 v139, v8, s[32:35], 0 offen offset:128// 000000008274: E1341080 80088B08
	v_mfma_f32_16x16x16_bf16 a[236:239], a[150:151], v[76:77], a[236:239]// 00000000827C: D3E180EC 0FB29996
	ds_write_b32 v13, v90 offset:13184                         // 000000008284: D81A3380 00005A0D
	v_mfma_f32_16x16x16_bf16 a[240:243], a[152:153], v[76:77], a[240:243]// 00000000828C: D3E180F0 0FC29998
	v_mfma_f32_16x16x16_bf16 a[244:247], a[154:155], v[76:77], a[244:247]// 000000008294: D3E180F4 0FD2999A
	ds_write_b32 v13, v91 offset:14240                         // 00000000829C: D81A37A0 00005B0D
	v_mfma_f32_16x16x16_bf16 a[248:251], a[156:157], v[76:77], a[248:251]// 0000000082A4: D3E180F8 0FE2999C
	v_mfma_f32_16x16x16_bf16 a[252:255], a[158:159], v[76:77], a[252:255]// 0000000082AC: D3E180FC 0FF2999E
	s_waitcnt vmcnt(8) lgkmcnt(4)                              // 0000000082B4: BF8C0478
	s_barrier                                                  // 0000000082B8: BF8A0000
	v_mfma_f32_16x16x16_bf16 v[128:131], v[48:49], a[48:49], 0 // 0000000082BC: D3E10080 12026130
	v_mul_f32_e32 v124, s48, v124                              // 0000000082C4: 0AF8F830
	s_nop 0                                                    // 0000000082C8: BF800000
	v_mfma_f32_16x16x16_bf16 v[128:131], v[50:51], a[52:53], v[128:131]// 0000000082CC: D3E10080 16026932
	ds_read_b128 a[144:147], v10                               // 0000000082D4: DBFE0000 9000000A
	v_mov_b32_e32 v32, 0                                       // 0000000082DC: 7E400280
	s_mov_b64 exec, s[90:91]                                   // 0000000082E0: BEFE015A
	buffer_load_dword v32, v1, s[8:11], 0 idxen                // 0000000082E4: E0502000 80022001
	s_mov_b32 exec_lo, -1                                      // 0000000082EC: BEFE00C1
	s_mov_b32 exec_hi, -1                                      // 0000000082F0: BEFF00C1
	v_mfma_f32_16x16x16_bf16 v[128:131], v[52:53], a[56:57], v[128:131]// 0000000082F4: D3E10080 16027134
	v_mfma_f32_16x16x16_bf16 v[128:131], v[54:55], a[60:61], v[128:131]// 0000000082FC: D3E10080 16027936
	ds_read_b128 a[148:151], v10 offset:512                    // 000000008304: DBFE0200 9400000A
	v_mov_b32_e32 v33, 0                                       // 00000000830C: 7E420280
	s_mov_b64 exec, s[90:91]                                   // 000000008310: BEFE015A
	buffer_load_dword v33, v2, s[8:11], 0 idxen                // 000000008314: E0502000 80022102
	s_mov_b32 exec_lo, -1                                      // 00000000831C: BEFE00C1
	s_mov_b32 exec_hi, -1                                      // 000000008320: BEFF00C1
	v_mfma_f32_16x16x16_bf16 v[128:131], v[56:57], a[64:65], v[128:131]// 000000008324: D3E10080 16028138
	v_perm_b32 v84, v37, v36, s63                              // 00000000832C: D1ED0054 00FE4925
	v_perm_b32 v85, v37, v36, s64                              // 000000008334: D1ED0055 01024925
	v_mfma_f32_16x16x16_bf16 v[128:131], v[58:59], a[68:69], v[128:131]// 00000000833C: D3E10080 1602893A
	ds_read_b128 a[152:155], v10 offset:2176                   // 000000008344: DBFE0880 9800000A
	v_mov_b32_e32 v34, 0                                       // 00000000834C: 7E440280
	s_mov_b64 exec, s[90:91]                                   // 000000008350: BEFE015A
	buffer_load_dword v34, v3, s[8:11], 0 idxen                // 000000008354: E0502000 80022203
	s_mov_b32 exec_lo, -1                                      // 00000000835C: BEFE00C1
	s_mov_b32 exec_hi, -1                                      // 000000008360: BEFF00C1
	v_mfma_f32_16x16x16_bf16 v[128:131], v[60:61], a[72:73], v[128:131]// 000000008364: D3E10080 1602913C
	v_perm_b32 v86, v39, v38, s63                              // 00000000836C: D1ED0056 00FE4D27
	v_perm_b32 v87, v39, v38, s64                              // 000000008374: D1ED0057 01024D27
	v_mfma_f32_16x16x16_bf16 v[128:131], v[62:63], a[76:77], v[128:131]// 00000000837C: D3E10080 1602993E
	ds_read_b128 a[156:159], v10 offset:2688                   // 000000008384: DBFE0A80 9C00000A
	v_mov_b32_e32 v35, 0                                       // 00000000838C: 7E460280
	s_mov_b64 exec, s[90:91]                                   // 000000008390: BEFE015A
	buffer_load_dword v35, v4, s[8:11], 0 idxen                // 000000008394: E0502000 80022304
	s_mov_b32 exec_lo, -1                                      // 00000000839C: BEFE00C1
	s_mov_b32 exec_hi, -1                                      // 0000000083A0: BEFF00C1
	v_mfma_f32_16x16x16_bf16 v[128:131], v[64:65], a[80:81], v[128:131]// 0000000083A4: D3E10080 1602A140
	v_perm_b32 v88, v45, v44, s63                              // 0000000083AC: D1ED0058 00FE592D
	v_perm_b32 v89, v45, v44, s64                              // 0000000083B4: D1ED0059 0102592D
	v_mfma_f32_16x16x16_bf16 v[128:131], v[66:67], a[84:85], v[128:131]// 0000000083BC: D3E10080 1602A942
	ds_read_b128 v[92:95], v10 offset:8704                     // 0000000083C4: D9FE2200 5C00000A
	v_mov_b32_e32 v40, 0                                       // 0000000083CC: 7E500280
	s_mov_b64 exec, s[90:91]                                   // 0000000083D0: BEFE015A
	buffer_load_dword v40, v252, s[20:23], 0 idxen             // 0000000083D4: E0502000 800528FC
	s_mov_b32 exec_lo, -1                                      // 0000000083DC: BEFE00C1
	s_mov_b32 exec_hi, -1                                      // 0000000083E0: BEFF00C1
	v_mfma_f32_16x16x16_bf16 v[128:131], v[68:69], a[88:89], v[128:131]// 0000000083E4: D3E10080 1602B144
	v_perm_b32 v90, v47, v46, s63                              // 0000000083EC: D1ED005A 00FE5D2F
	v_perm_b32 v91, v47, v46, s64                              // 0000000083F4: D1ED005B 01025D2F
	v_mfma_f32_16x16x16_bf16 v[128:131], v[70:71], a[92:93], v[128:131]// 0000000083FC: D3E10080 1602B946
	ds_read_b128 v[96:99], v10 offset:9216                     // 000000008404: D9FE2400 6000000A
	v_mov_b32_e32 v41, 0                                       // 00000000840C: 7E520280
	s_mov_b64 exec, s[90:91]                                   // 000000008410: BEFE015A
	buffer_load_dword v41, v253, s[20:23], 0 idxen             // 000000008414: E0502000 800529FD
	s_mov_b32 exec_lo, -1                                      // 00000000841C: BEFE00C1
	s_mov_b32 exec_hi, -1                                      // 000000008420: BEFF00C1
	v_mfma_f32_16x16x16_bf16 v[132:135], v[48:49], a[50:51], 0 // 000000008424: D3E10084 12026530
	v_mov_b32_dpp v127, v124 quad_perm:[3,3,3,3] row_mask:0xf bank_mask:0xf// 00000000842C: 7EFE02FA FF00FF7C
	v_mov_b32_dpp v126, v124 quad_perm:[2,2,2,2] row_mask:0xf bank_mask:0xf// 000000008434: 7EFC02FA FF00AA7C
	v_mfma_f32_16x16x16_bf16 v[132:135], v[50:51], a[54:55], v[132:135]// 00000000843C: D3E10084 16126D32
	ds_read_b128 v[100:103], v10 offset:10880                  // 000000008444: D9FE2A80 6400000A
	v_mov_b32_e32 v42, 0                                       // 00000000844C: 7E540280
	s_mov_b64 exec, s[90:91]                                   // 000000008450: BEFE015A
	buffer_load_dword v42, v254, s[20:23], 0 idxen             // 000000008454: E0502000 80052AFE
	s_mov_b32 exec_lo, -1                                      // 00000000845C: BEFE00C1
	s_mov_b32 exec_hi, -1                                      // 000000008460: BEFF00C1
	v_mfma_f32_16x16x16_bf16 v[132:135], v[52:53], a[58:59], v[132:135]// 000000008464: D3E10084 16127534
	v_mov_b32_dpp v125, v124 quad_perm:[1,1,1,1] row_mask:0xf bank_mask:0xf// 00000000846C: 7EFA02FA FF00557C
	v_mov_b32_dpp v124, v124 quad_perm:[0,0,0,0] row_mask:0xf bank_mask:0xf// 000000008474: 7EF802FA FF00007C
	s_add_u32 s60, 64, s59                                     // 00000000847C: 803C3BC0
	v_mfma_f32_16x16x16_bf16 v[132:135], v[54:55], a[62:63], v[132:135]// 000000008480: D3E10084 16127D36
	ds_read_b128 v[104:107], v10 offset:11392                  // 000000008488: D9FE2C80 6800000A
	v_mov_b32_e32 v43, 0                                       // 000000008490: 7E560280
	s_mov_b64 exec, s[90:91]                                   // 000000008494: BEFE015A
	buffer_load_dword v43, v255, s[20:23], 0 idxen             // 000000008498: E0502000 80052BFF
	s_mov_b32 exec_lo, -1                                      // 0000000084A0: BEFE00C1
	s_mov_b32 exec_hi, -1                                      // 0000000084A4: BEFF00C1
	v_mfma_f32_16x16x16_bf16 v[132:135], v[56:57], a[66:67], v[132:135]// 0000000084A8: D3E10084 16128538
	s_cmp_lt_u32 s60, s58                                      // 0000000084B0: BF0A3A3C
	s_cselect_b32 s68, s68, 0                                  // 0000000084B4: 85448044
	s_cselect_b32 s99, s99, 0                                  // 0000000084B8: 85638063
	s_cselect_b32 s69, s69, 0                                  // 0000000084BC: 85458045
	v_mfma_f32_16x16x16_bf16 v[132:135], v[58:59], a[70:71], v[132:135]// 0000000084C0: D3E10084 16128D3A
	buffer_load_dword v9, s[24:27], 0 idxen lds                // 0000000084C8: E0512000 80060009
	v_mfma_f32_16x16x16_bf16 v[132:135], v[60:61], a[74:75], v[132:135]// 0000000084D0: D3E10084 1612953C
	v_add_u32_e32 v1, s68, v1                                  // 0000000084D8: 68020244
	v_add_u32_e32 v2, s68, v2                                  // 0000000084DC: 68040444
	v_add_u32_e32 v3, s68, v3                                  // 0000000084E0: 68060644
	v_add_u32_e32 v4, s68, v4                                  // 0000000084E4: 68080844
	v_mfma_f32_16x16x16_bf16 v[132:135], v[62:63], a[78:79], v[132:135]// 0000000084E8: D3E10084 16129D3E
	v_add_u32_e32 v252, s99, v252                              // 0000000084F0: 69F9F863
	v_add_u32_e32 v253, s99, v253                              // 0000000084F4: 69FBFA63
	v_add_u32_e32 v254, s99, v254                              // 0000000084F8: 69FDFC63
	v_add_u32_e32 v255, s99, v255                              // 0000000084FC: 69FFFE63
	v_mfma_f32_16x16x16_bf16 v[132:135], v[64:65], a[82:83], v[132:135]// 000000008500: D3E10084 1612A540
	s_mov_b32 m0, s81                                          // 000000008508: BEFC0051
	v_add_u32_e32 v9, s69, v9                                  // 00000000850C: 68121245
	v_mfma_f32_16x16x16_bf16 v[132:135], v[66:67], a[86:87], v[132:135]// 000000008510: D3E10084 1612AD42
	s_cmp_ge_u32 s59, s73                                      // 000000008518: BF09493B
	s_cselect_b32 s66, s67, s66                                // 00000000851C: 85424243
	v_mfma_f32_16x16x16_bf16 v[132:135], v[68:69], a[90:91], v[132:135]// 000000008520: D3E10084 1612B544
	s_addk_i32 s59, 0x10                                       // 000000008528: B73B0010
	s_nop 0                                                    // 00000000852C: BF800000
	s_cmp_lt_i32 s59, s58                                      // 000000008530: BF043A3B
	v_mfma_f32_16x16x16_bf16 v[132:135], v[70:71], a[94:95], v[132:135]// 000000008534: D3E10084 1612BD46
	s_cbranch_scc0 label_11DB                                  // 00000000853C: BF840001
	s_branch label_0A66                                        // 000000008540: BF82F895

0000000000008544 <label_11DB>:
	s_nop 0                                                    // 000000008544: BF800000
	s_nop 0                                                    // 000000008548: BF800000
	s_branch label_1953                                        // 00000000854C: BF82076B

0000000000008550 <label_11DE>:
	s_waitcnt lgkmcnt(0)                                       // 000000008550: BF8CC07F
	s_barrier                                                  // 000000008554: BF8A0000
	v_mfma_f32_16x16x16_bf16 v[48:51], a[144:145], a[0:1], 0   // 000000008558: D3E10030 1A020190
	v_mul_f32_e32 v128, s47, v128                              // 000000008560: 0B01002F
	v_mul_f32_e32 v129, s47, v129                              // 000000008564: 0B03022F
	v_mfma_f32_16x16x16_bf16 v[48:51], a[146:147], a[2:3], v[48:51]// 000000008568: D3E10030 1CC20592
	ds_write_b32 v11, v44 offset:8704                          // 000000008570: D81A2200 00002C0B
	ds_write_b32 v11, v45 offset:9760                          // 000000008578: D81A2620 00002D0B
	v_mfma_f32_16x16x16_bf16 v[48:51], a[148:149], a[4:5], v[48:51]// 000000008580: D3E10030 1CC20994
	v_mul_f32_e32 v130, s47, v130                              // 000000008588: 0B05042F
	v_mul_f32_e32 v131, s47, v131                              // 00000000858C: 0B07062F
	v_mfma_f32_16x16x16_bf16 v[48:51], a[150:151], a[6:7], v[48:51]// 000000008590: D3E10030 1CC20D96
	ds_write_b32 v11, v46 offset:8832                          // 000000008598: D81A2280 00002E0B
	ds_write_b32 v11, v47 offset:9888                          // 0000000085A0: D81A26A0 00002F0B
	v_mfma_f32_16x16x16_bf16 v[48:51], a[152:153], a[8:9], v[48:51]// 0000000085A8: D3E10030 1CC21198
	v_mul_f32_e32 v132, s47, v132                              // 0000000085B0: 0B09082F
	v_mul_f32_e32 v133, s47, v133                              // 0000000085B4: 0B0B0A2F
	v_mfma_f32_16x16x16_bf16 v[48:51], a[154:155], a[10:11], v[48:51]// 0000000085B8: D3E10030 1CC2159A
	ds_write_b64 v20, v[128:129] offset:24320                  // 0000000085C0: D89A5F00 00008014
	v_mfma_f32_16x16x16_bf16 v[48:51], a[156:157], a[12:13], v[48:51]// 0000000085C8: D3E10030 1CC2199C
	v_mul_f32_e32 v134, s47, v134                              // 0000000085D0: 0B0D0C2F
	v_mul_f32_e32 v135, s47, v135                              // 0000000085D4: 0B0F0E2F
	v_mfma_f32_16x16x16_bf16 v[48:51], a[158:159], a[14:15], v[48:51]// 0000000085D8: D3E10030 1CC21D9E
	ds_write_b64 v20, v[130:131] offset:24832                  // 0000000085E0: D89A6100 00008214
	v_mfma_f32_16x16x16_bf16 v[52:55], a[144:145], a[16:17], 0 // 0000000085E8: D3E10034 1A022190
	buffer_atomic_add_f32 v140, v7, s[32:35], 0 offen offset:256// 0000000085F0: E1341100 80088C07
	v_mfma_f32_16x16x16_bf16 v[52:55], a[146:147], a[18:19], v[52:55]// 0000000085F8: D3E10034 1CD22592
	ds_write_b64 v20, v[132:133] offset:25344                  // 000000008600: D89A6300 00008414
	v_mfma_f32_16x16x16_bf16 v[52:55], a[148:149], a[20:21], v[52:55]// 000000008608: D3E10034 1CD22994
	v_mfma_f32_16x16x16_bf16 v[52:55], a[150:151], a[22:23], v[52:55]// 000000008610: D3E10034 1CD22D96
	ds_write_b64 v20, v[134:135] offset:25856                  // 000000008618: D89A6500 00008614
	v_mfma_f32_16x16x16_bf16 v[52:55], a[152:153], a[24:25], v[52:55]// 000000008620: D3E10034 1CD23198
	buffer_atomic_add_f32 v141, v8, s[32:35], 0 offen offset:256// 000000008628: E1341100 80088D08
	v_mfma_f32_16x16x16_bf16 v[52:55], a[154:155], a[26:27], v[52:55]// 000000008630: D3E10034 1CD2359A
	ds_read_b128 v[108:111], v12 offset:13056                  // 000000008638: D9FE3300 6C00000C
	ds_write_b32 v11, v36                                      // 000000008640: D81A0000 0000240B
	v_mfma_f32_16x16x16_bf16 v[52:55], a[156:157], a[28:29], v[52:55]// 000000008648: D3E10034 1CD2399C
	v_mfma_f32_16x16x16_bf16 v[52:55], a[158:159], a[30:31], v[52:55]// 000000008650: D3E10034 1CD23D9E
	v_mfma_f32_16x16x16_bf16 v[56:59], a[144:145], a[32:33], 0 // 000000008658: D3E10038 1A024190
	ds_read_b128 v[112:115], v12 offset:13568                  // 000000008660: D9FE3500 7000000C
	ds_write_b32 v11, v37 offset:1056                          // 000000008668: D81A0420 0000250B
	v_mfma_f32_16x16x16_bf16 v[56:59], a[146:147], a[34:35], v[56:59]// 000000008670: D3E10038 1CE24592
	buffer_atomic_add_f32 v142, v7, s[32:35], 0 offen offset:384// 000000008678: E1341180 80088E07
	v_mfma_f32_16x16x16_bf16 v[56:59], a[148:149], a[36:37], v[56:59]// 000000008680: D3E10038 1CE24994
	v_mfma_f32_16x16x16_bf16 v[56:59], a[150:151], a[38:39], v[56:59]// 000000008688: D3E10038 1CE24D96
	ds_read_b128 v[116:119], v12 offset:15232                  // 000000008690: D9FE3B80 7400000C
	ds_write_b32 v11, v38 offset:128                           // 000000008698: D81A0080 0000260B
	v_mfma_f32_16x16x16_bf16 v[56:59], a[152:153], a[40:41], v[56:59]// 0000000086A0: D3E10038 1CE25198
	v_mfma_f32_16x16x16_bf16 v[56:59], a[154:155], a[42:43], v[56:59]// 0000000086A8: D3E10038 1CE2559A
	buffer_atomic_add_f32 v143, v8, s[32:35], 0 offen offset:384// 0000000086B0: E1341180 80088F08
	v_mfma_f32_16x16x16_bf16 v[56:59], a[156:157], a[44:45], v[56:59]// 0000000086B8: D3E10038 1CE2599C
	ds_read_b128 v[120:123], v12 offset:15744                  // 0000000086C0: D9FE3D80 7800000C
	ds_write_b32 v11, v39 offset:1184                          // 0000000086C8: D81A04A0 0000270B
	v_mfma_f32_16x16x16_bf16 v[56:59], a[158:159], a[46:47], v[56:59]// 0000000086D0: D3E10038 1CE25D9E
	s_cmp_lt_i32 s74, 12                                       // 0000000086D8: BF048C4A
	s_cbranch_scc0 label_12B7                                  // 0000000086DC: BF840075
	s_mov_b32 s60, 0xffe0fffe                                  // 0000000086E0: BEBC00FF FFE0FFFE
	s_mov_b32 s61, 0xe000fe00                                  // 0000000086E8: BEBD00FF E000FE00
	s_nop 0                                                    // 0000000086F0: BF800000
	s_add_u32 s62, 0, s46                                      // 0000000086F4: 803E2E80
	s_cmp_lt_i32 s74, s62                                      // 0000000086F8: BF043E4A
	s_cbranch_scc1 label_1272                                  // 0000000086FC: BF850028
	s_cmp_eq_i32 s74, s62                                      // 000000008700: BF003E4A
	s_cbranch_scc1 label_1257                                  // 000000008704: BF85000B
	s_add_u32 s62, 4, s46                                      // 000000008708: 803E2E84
	s_cmp_lt_i32 s74, s62                                      // 00000000870C: BF043E4A
	s_cbranch_scc1 label_1292                                  // 000000008710: BF850043
	s_cmp_eq_i32 s74, s62                                      // 000000008714: BF003E4A
	s_cbranch_scc1 label_1277                                  // 000000008718: BF850026
	s_add_u32 s62, 8, s46                                      // 00000000871C: 803E2E88
	s_cmp_lt_i32 s74, s62                                      // 000000008720: BF043E4A
	s_cbranch_scc1 label_12B2                                  // 000000008724: BF85005E
	s_cmp_eq_i32 s74, s62                                      // 000000008728: BF003E4A
	s_cbranch_scc1 label_1297                                  // 00000000872C: BF850041
	s_branch label_12B7                                        // 000000008730: BF820060

0000000000008734 <label_1257>:
	v_cndmask_b32_e64 v48, v48, v151, s[60:61]                 // 000000008734: D1000030 00F32F30
	s_lshl_b32 s60, s60, 1                                     // 00000000873C: 8E3C813C
	s_lshl_b32 s61, s61, 1                                     // 000000008740: 8E3D813D
	s_and_b32 s60, 0xfffeffff, s60                             // 000000008744: 863C3CFF FFFEFFFF
	s_and_b32 s61, 0xfffeffff, s61                             // 00000000874C: 863D3DFF FFFEFFFF
	v_cndmask_b32_e64 v49, v49, v151, s[60:61]                 // 000000008754: D1000031 00F32F31
	s_lshl_b32 s60, s60, 1                                     // 00000000875C: 8E3C813C
	s_lshl_b32 s61, s61, 1                                     // 000000008760: 8E3D813D
	s_and_b32 s60, 0xfffeffff, s60                             // 000000008764: 863C3CFF FFFEFFFF
	s_and_b32 s61, 0xfffeffff, s61                             // 00000000876C: 863D3DFF FFFEFFFF
	v_cndmask_b32_e64 v50, v50, v151, s[60:61]                 // 000000008774: D1000032 00F32F32
	s_lshl_b32 s60, s60, 1                                     // 00000000877C: 8E3C813C
	s_lshl_b32 s61, s61, 1                                     // 000000008780: 8E3D813D
	s_and_b32 s60, 0xfffeffff, s60                             // 000000008784: 863C3CFF FFFEFFFF
	s_and_b32 s61, 0xfffeffff, s61                             // 00000000878C: 863D3DFF FFFEFFFF
	v_cndmask_b32_e64 v51, v51, v151, s[60:61]                 // 000000008794: D1000033 00F32F33
	s_branch label_1292                                        // 00000000879C: BF820020

00000000000087a0 <label_1272>:
	v_mov_b32_e32 v48, v151                                    // 0000000087A0: 7E600397
	v_mov_b32_e32 v49, v151                                    // 0000000087A4: 7E620397
	v_mov_b32_e32 v50, v151                                    // 0000000087A8: 7E640397
	v_mov_b32_e32 v51, v151                                    // 0000000087AC: 7E660397
	s_branch label_1292                                        // 0000000087B0: BF82001B

00000000000087b4 <label_1277>:
	v_cndmask_b32_e64 v52, v52, v151, s[60:61]                 // 0000000087B4: D1000034 00F32F34
	s_lshl_b32 s60, s60, 1                                     // 0000000087BC: 8E3C813C
	s_lshl_b32 s61, s61, 1                                     // 0000000087C0: 8E3D813D
	s_and_b32 s60, 0xfffeffff, s60                             // 0000000087C4: 863C3CFF FFFEFFFF
	s_and_b32 s61, 0xfffeffff, s61                             // 0000000087CC: 863D3DFF FFFEFFFF
	v_cndmask_b32_e64 v53, v53, v151, s[60:61]                 // 0000000087D4: D1000035 00F32F35
	s_lshl_b32 s60, s60, 1                                     // 0000000087DC: 8E3C813C
	s_lshl_b32 s61, s61, 1                                     // 0000000087E0: 8E3D813D
	s_and_b32 s60, 0xfffeffff, s60                             // 0000000087E4: 863C3CFF FFFEFFFF
	s_and_b32 s61, 0xfffeffff, s61                             // 0000000087EC: 863D3DFF FFFEFFFF
	v_cndmask_b32_e64 v54, v54, v151, s[60:61]                 // 0000000087F4: D1000036 00F32F36
	s_lshl_b32 s60, s60, 1                                     // 0000000087FC: 8E3C813C
	s_lshl_b32 s61, s61, 1                                     // 000000008800: 8E3D813D
	s_and_b32 s60, 0xfffeffff, s60                             // 000000008804: 863C3CFF FFFEFFFF
	s_and_b32 s61, 0xfffeffff, s61                             // 00000000880C: 863D3DFF FFFEFFFF
	v_cndmask_b32_e64 v55, v55, v151, s[60:61]                 // 000000008814: D1000037 00F32F37
	s_branch label_12B2                                        // 00000000881C: BF820020

0000000000008820 <label_1292>:
	v_mov_b32_e32 v52, v151                                    // 000000008820: 7E680397
	v_mov_b32_e32 v53, v151                                    // 000000008824: 7E6A0397
	v_mov_b32_e32 v54, v151                                    // 000000008828: 7E6C0397
	v_mov_b32_e32 v55, v151                                    // 00000000882C: 7E6E0397
	s_branch label_12B2                                        // 000000008830: BF82001B

0000000000008834 <label_1297>:
	v_cndmask_b32_e64 v56, v56, v151, s[60:61]                 // 000000008834: D1000038 00F32F38
	s_lshl_b32 s60, s60, 1                                     // 00000000883C: 8E3C813C
	s_lshl_b32 s61, s61, 1                                     // 000000008840: 8E3D813D
	s_and_b32 s60, 0xfffeffff, s60                             // 000000008844: 863C3CFF FFFEFFFF
	s_and_b32 s61, 0xfffeffff, s61                             // 00000000884C: 863D3DFF FFFEFFFF
	v_cndmask_b32_e64 v57, v57, v151, s[60:61]                 // 000000008854: D1000039 00F32F39
	s_lshl_b32 s60, s60, 1                                     // 00000000885C: 8E3C813C
	s_lshl_b32 s61, s61, 1                                     // 000000008860: 8E3D813D
	s_and_b32 s60, 0xfffeffff, s60                             // 000000008864: 863C3CFF FFFEFFFF
	s_and_b32 s61, 0xfffeffff, s61                             // 00000000886C: 863D3DFF FFFEFFFF
	v_cndmask_b32_e64 v58, v58, v151, s[60:61]                 // 000000008874: D100003A 00F32F3A
	s_lshl_b32 s60, s60, 1                                     // 00000000887C: 8E3C813C
	s_lshl_b32 s61, s61, 1                                     // 000000008880: 8E3D813D
	s_and_b32 s60, 0xfffeffff, s60                             // 000000008884: 863C3CFF FFFEFFFF
	s_and_b32 s61, 0xfffeffff, s61                             // 00000000888C: 863D3DFF FFFEFFFF
	v_cndmask_b32_e64 v59, v59, v151, s[60:61]                 // 000000008894: D100003B 00F32F3B
	s_branch label_12B7                                        // 00000000889C: BF820005

00000000000088a0 <label_12B2>:
	v_mov_b32_e32 v56, v151                                    // 0000000088A0: 7E700397
	v_mov_b32_e32 v57, v151                                    // 0000000088A4: 7E720397
	v_mov_b32_e32 v58, v151                                    // 0000000088A8: 7E740397
	v_mov_b32_e32 v59, v151                                    // 0000000088AC: 7E760397
	s_branch label_12B7                                        // 0000000088B0: BF820000

00000000000088b4 <label_12B7>:
	s_cmp_lt_i32 s100, 0xc0                                    // 0000000088B4: BF04FF64 000000C0
	s_cbranch_scc0 label_130C                                  // 0000000088BC: BF84004D
	s_cmp_le_i32 s100, 64                                      // 0000000088C0: BF05C064
	s_cbranch_scc1 label_12C3                                  // 0000000088C4: BF850007
	s_cmp_le_i32 s100, 0x80                                    // 0000000088C8: BF05FF64 00000080
	s_cbranch_scc1 label_12DB                                  // 0000000088D0: BF850017
	s_cmp_lt_i32 s100, 0xc0                                    // 0000000088D4: BF04FF64 000000C0
	s_cbranch_scc1 label_12F3                                  // 0000000088DC: BF85002C
	s_branch label_130C                                        // 0000000088E0: BF820044

00000000000088e4 <label_12C3>:
	s_mov_b32 s60, 0                                           // 0000000088E4: BEBC0080
	v_and_b32_e32 v28, 15, v0                                  // 0000000088E8: 2638008F
	v_add_u32_e64 v28, v28, s60                                // 0000000088EC: D134001C 0000791C
	v_mul_i32_i24_e64 v29, s46, 16                             // 0000000088F4: D106001D 0001202E
	v_add_u32_e32 v28, v28, v29                                // 0000000088FC: 68383B1C
	v_cmp_lt_u32_e64 s[60:61], v28, s100                       // 000000008900: D0C9003C 0000C91C
	s_nop 1                                                    // 000000008908: BF800001
	v_cndmask_b32_e64 v48, v151, v48, s[60:61]                 // 00000000890C: D1000030 00F26197
	v_cndmask_b32_e64 v49, v151, v49, s[60:61]                 // 000000008914: D1000031 00F26397
	v_cndmask_b32_e64 v50, v151, v50, s[60:61]                 // 00000000891C: D1000032 00F26597
	v_cndmask_b32_e64 v51, v151, v51, s[60:61]                 // 000000008924: D1000033 00F26797
	s_branch label_12EE                                        // 00000000892C: BF820013

0000000000008930 <label_12DB>:
	s_mov_b32 s60, 64                                          // 000000008930: BEBC00C0
	v_and_b32_e32 v28, 15, v0                                  // 000000008934: 2638008F
	v_add_u32_e64 v28, v28, s60                                // 000000008938: D134001C 0000791C
	v_mul_i32_i24_e64 v29, s46, 16                             // 000000008940: D106001D 0001202E
	v_add_u32_e32 v28, v28, v29                                // 000000008948: 68383B1C
	v_cmp_lt_u32_e64 s[60:61], v28, s100                       // 00000000894C: D0C9003C 0000C91C
	s_nop 1                                                    // 000000008954: BF800001
	v_cndmask_b32_e64 v52, v151, v52, s[60:61]                 // 000000008958: D1000034 00F26997
	v_cndmask_b32_e64 v53, v151, v53, s[60:61]                 // 000000008960: D1000035 00F26B97
	v_cndmask_b32_e64 v54, v151, v54, s[60:61]                 // 000000008968: D1000036 00F26D97
	v_cndmask_b32_e64 v55, v151, v55, s[60:61]                 // 000000008970: D1000037 00F26F97
	s_branch label_1307                                        // 000000008978: BF820019

000000000000897c <label_12EE>:
	v_mov_b32_e32 v52, v151                                    // 00000000897C: 7E680397
	v_mov_b32_e32 v53, v151                                    // 000000008980: 7E6A0397
	v_mov_b32_e32 v54, v151                                    // 000000008984: 7E6C0397
	v_mov_b32_e32 v55, v151                                    // 000000008988: 7E6E0397
	s_branch label_1307                                        // 00000000898C: BF820014

0000000000008990 <label_12F3>:
	s_mov_b32 s60, 0x80                                        // 000000008990: BEBC00FF 00000080
	v_and_b32_e32 v28, 15, v0                                  // 000000008998: 2638008F
	v_add_u32_e64 v28, v28, s60                                // 00000000899C: D134001C 0000791C
	v_mul_i32_i24_e64 v29, s46, 16                             // 0000000089A4: D106001D 0001202E
	v_add_u32_e32 v28, v28, v29                                // 0000000089AC: 68383B1C
	v_cmp_lt_u32_e64 s[60:61], v28, s100                       // 0000000089B0: D0C9003C 0000C91C
	s_nop 1                                                    // 0000000089B8: BF800001
	v_cndmask_b32_e64 v56, v151, v56, s[60:61]                 // 0000000089BC: D1000038 00F27197
	v_cndmask_b32_e64 v57, v151, v57, s[60:61]                 // 0000000089C4: D1000039 00F27397
	v_cndmask_b32_e64 v58, v151, v58, s[60:61]                 // 0000000089CC: D100003A 00F27597
	v_cndmask_b32_e64 v59, v151, v59, s[60:61]                 // 0000000089D4: D100003B 00F27797
	s_branch label_130C                                        // 0000000089DC: BF820005

00000000000089e0 <label_1307>:
	v_mov_b32_e32 v56, v151                                    // 0000000089E0: 7E700397
	v_mov_b32_e32 v57, v151                                    // 0000000089E4: 7E720397
	v_mov_b32_e32 v58, v151                                    // 0000000089E8: 7E740397
	v_mov_b32_e32 v59, v151                                    // 0000000089EC: 7E760397
	s_branch label_130C                                        // 0000000089F0: BF820000

00000000000089f4 <label_130C>:
	s_addk_i32 s74, 0x1                                        // 0000000089F4: B74A0001
	s_waitcnt lgkmcnt(8)                                       // 0000000089F8: BF8CC87F
	s_barrier                                                  // 0000000089FC: BF8A0000
	v_mfma_f32_16x16x16_bf16 v[72:75], v[92:93], a[96:97], 0   // 000000008A00: D3E10048 1202C15C
	v_fma_f32 v48, v48, s57, -v124                             // 000000008A08: D1CB0030 85F07330
	v_fma_f32 v49, v49, s57, -v125                             // 000000008A10: D1CB0031 85F47331
	v_fma_f32 v50, v50, s57, -v126                             // 000000008A18: D1CB0032 85F87332
	v_mfma_f32_16x16x16_bf16 v[72:75], v[94:95], a[98:99], v[72:75]// 000000008A20: D3E10048 1522C55E
	ds_read_b128 a[144:147], v12 offset:4352                   // 000000008A28: DBFE1100 9000000C
	ds_read_b128 a[148:151], v12 offset:4864                   // 000000008A30: DBFE1300 9400000C
	v_mfma_f32_16x16x16_bf16 v[72:75], v[96:97], a[100:101], v[72:75]// 000000008A38: D3E10048 1522C960
	v_fma_f32 v51, v51, s57, -v127                             // 000000008A40: D1CB0033 85FC7333
	v_fma_f32 v52, v52, s57, -v124                             // 000000008A48: D1CB0034 85F07334
	v_fma_f32 v53, v53, s57, -v125                             // 000000008A50: D1CB0035 85F47335
	v_mfma_f32_16x16x16_bf16 v[72:75], v[98:99], a[102:103], v[72:75]// 000000008A58: D3E10048 1522CD62
	v_fma_f32 v54, v54, s57, -v126                             // 000000008A60: D1CB0036 85F87336
	v_fma_f32 v55, v55, s57, -v127                             // 000000008A68: D1CB0037 85FC7337
	v_fma_f32 v56, v56, s57, -v124                             // 000000008A70: D1CB0038 85F07338
	v_mfma_f32_16x16x16_bf16 v[72:75], v[100:101], a[104:105], v[72:75]// 000000008A78: D3E10048 1522D164
	v_fma_f32 v57, v57, s57, -v125                             // 000000008A80: D1CB0039 85F47339
	v_fma_f32 v58, v58, s57, -v126                             // 000000008A88: D1CB003A 85F8733A
	v_fma_f32 v59, v59, s57, -v127                             // 000000008A90: D1CB003B 85FC733B
	v_mfma_f32_16x16x16_bf16 v[72:75], v[102:103], a[106:107], v[72:75]// 000000008A98: D3E10048 1522D566
	ds_read_b128 a[152:155], v12 offset:6528                   // 000000008AA0: DBFE1980 9800000C
	ds_read_b128 a[156:159], v12 offset:7040                   // 000000008AA8: DBFE1B80 9C00000C
	v_mfma_f32_16x16x16_bf16 v[72:75], v[104:105], a[108:109], v[72:75]// 000000008AB0: D3E10048 1522D968
	v_exp_f32_e32 v48, v48                                     // 000000008AB8: 7E604130
	v_mfma_f32_16x16x16_bf16 v[72:75], v[106:107], a[110:111], v[72:75]// 000000008ABC: D3E10048 1522DD6A
	v_exp_f32_e32 v49, v49                                     // 000000008AC4: 7E624131
	v_mfma_f32_16x16x16_bf16 v[76:79], v[92:93], a[112:113], 0 // 000000008AC8: D3E1004C 1202E15C
	v_exp_f32_e32 v50, v50                                     // 000000008AD0: 7E644132
	v_mfma_f32_16x16x16_bf16 v[76:79], v[94:95], a[114:115], v[76:79]// 000000008AD4: D3E1004C 1532E55E
	ds_read_b64 v[136:137], v19 offset:24320                   // 000000008ADC: D8EC5F00 88000013
	ds_read_b64 v[138:139], v19 offset:26368                   // 000000008AE4: D8EC6700 8A000013
	v_mfma_f32_16x16x16_bf16 v[76:79], v[96:97], a[116:117], v[76:79]// 000000008AEC: D3E1004C 1532E960
	v_exp_f32_e32 v51, v51                                     // 000000008AF4: 7E664133
	v_mfma_f32_16x16x16_bf16 v[76:79], v[98:99], a[118:119], v[76:79]// 000000008AF8: D3E1004C 1532ED62
	ds_read_b64 v[140:141], v19 offset:28416                   // 000000008B00: D8EC6F00 8C000013
	ds_read_b64 v[142:143], v19 offset:30464                   // 000000008B08: D8EC7700 8E000013
	v_mfma_f32_16x16x16_bf16 v[76:79], v[100:101], a[120:121], v[76:79]// 000000008B10: D3E1004C 1532F164
	v_exp_f32_e32 v52, v52                                     // 000000008B18: 7E684134
	v_mfma_f32_16x16x16_bf16 v[76:79], v[102:103], a[122:123], v[76:79]// 000000008B1C: D3E1004C 1532F566
	v_exp_f32_e32 v53, v53                                     // 000000008B24: 7E6A4135
	v_mfma_f32_16x16x16_bf16 v[76:79], v[104:105], a[124:125], v[76:79]// 000000008B28: D3E1004C 1532F968
	v_exp_f32_e32 v54, v54                                     // 000000008B30: 7E6C4136
	v_mfma_f32_16x16x16_bf16 v[76:79], v[106:107], a[126:127], v[76:79]// 000000008B34: D3E1004C 1532FD6A
	v_exp_f32_e32 v55, v55                                     // 000000008B3C: 7E6E4137
	v_mfma_f32_16x16x16_bf16 v[80:83], v[92:93], a[128:129], 0 // 000000008B40: D3E10050 1203015C
	v_exp_f32_e32 v56, v56                                     // 000000008B48: 7E704138
	v_mfma_f32_16x16x16_bf16 v[80:83], v[94:95], a[130:131], v[80:83]// 000000008B4C: D3E10050 1543055E
	v_exp_f32_e32 v57, v57                                     // 000000008B54: 7E724139
	v_mfma_f32_16x16x16_bf16 v[80:83], v[96:97], a[132:133], v[80:83]// 000000008B58: D3E10050 15430960
	v_exp_f32_e32 v58, v58                                     // 000000008B60: 7E74413A
	v_mfma_f32_16x16x16_bf16 v[80:83], v[98:99], a[134:135], v[80:83]// 000000008B64: D3E10050 15430D62
	v_exp_f32_e32 v59, v59                                     // 000000008B6C: 7E76413B
	v_mfma_f32_16x16x16_bf16 v[80:83], v[100:101], a[136:137], v[80:83]// 000000008B70: D3E10050 15431164
	v_cmp_u_f32_e64 s[78:79], v48, v48                         // 000000008B78: D048004E 00026130
	v_add3_u32 v248, v48, v251, 1                              // 000000008B80: D1FF00F8 0207F730
	v_cndmask_b32_e64 v28, v248, v250, s[78:79]                // 000000008B88: D100001C 013BF5F8
	v_cmp_u_f32_e64 s[78:79], v49, v49                         // 000000008B90: D048004E 00026331
	v_add3_u32 v248, v49, v251, 1                              // 000000008B98: D1FF00F8 0207F731
	v_cndmask_b32_e64 v29, v248, v250, s[78:79]                // 000000008BA0: D100001D 013BF5F8
	v_perm_b32 v144, v29, v28, s64                             // 000000008BA8: D1ED0090 0102391D
	v_cmp_u_f32_e64 s[78:79], v50, v50                         // 000000008BB0: D048004E 00026532
	v_add3_u32 v248, v50, v251, 1                              // 000000008BB8: D1FF00F8 0207F732
	v_cndmask_b32_e64 v28, v248, v250, s[78:79]                // 000000008BC0: D100001C 013BF5F8
	v_cmp_u_f32_e64 s[78:79], v51, v51                         // 000000008BC8: D048004E 00026733
	v_add3_u32 v248, v51, v251, 1                              // 000000008BD0: D1FF00F8 0207F733
	v_cndmask_b32_e64 v29, v248, v250, s[78:79]                // 000000008BD8: D100001D 013BF5F8
	v_perm_b32 v145, v29, v28, s64                             // 000000008BE0: D1ED0091 0102391D
	v_cmp_u_f32_e64 s[78:79], v52, v52                         // 000000008BE8: D048004E 00026934
	v_add3_u32 v248, v52, v251, 1                              // 000000008BF0: D1FF00F8 0207F734
	v_cndmask_b32_e64 v28, v248, v250, s[78:79]                // 000000008BF8: D100001C 013BF5F8
	v_cmp_u_f32_e64 s[78:79], v53, v53                         // 000000008C00: D048004E 00026B35
	v_add3_u32 v248, v53, v251, 1                              // 000000008C08: D1FF00F8 0207F735
	v_cndmask_b32_e64 v29, v248, v250, s[78:79]                // 000000008C10: D100001D 013BF5F8
	v_perm_b32 v146, v29, v28, s64                             // 000000008C18: D1ED0092 0102391D
	v_mfma_f32_16x16x16_bf16 v[80:83], v[102:103], a[138:139], v[80:83]// 000000008C20: D3E10050 15431566
	v_cmp_u_f32_e64 s[78:79], v54, v54                         // 000000008C28: D048004E 00026D36
	v_add3_u32 v248, v54, v251, 1                              // 000000008C30: D1FF00F8 0207F736
	v_cndmask_b32_e64 v28, v248, v250, s[78:79]                // 000000008C38: D100001C 013BF5F8
	v_cmp_u_f32_e64 s[78:79], v55, v55                         // 000000008C40: D048004E 00026F37
	v_add3_u32 v248, v55, v251, 1                              // 000000008C48: D1FF00F8 0207F737
	v_cndmask_b32_e64 v29, v248, v250, s[78:79]                // 000000008C50: D100001D 013BF5F8
	v_perm_b32 v147, v29, v28, s64                             // 000000008C58: D1ED0093 0102391D
	v_cmp_u_f32_e64 s[78:79], v56, v56                         // 000000008C60: D048004E 00027138
	v_add3_u32 v248, v56, v251, 1                              // 000000008C68: D1FF00F8 0207F738
	v_cndmask_b32_e64 v28, v248, v250, s[78:79]                // 000000008C70: D100001C 013BF5F8
	v_cmp_u_f32_e64 s[78:79], v57, v57                         // 000000008C78: D048004E 00027339
	v_add3_u32 v248, v57, v251, 1                              // 000000008C80: D1FF00F8 0207F739
	v_cndmask_b32_e64 v29, v248, v250, s[78:79]                // 000000008C88: D100001D 013BF5F8
	v_perm_b32 v148, v29, v28, s64                             // 000000008C90: D1ED0094 0102391D
	v_cmp_u_f32_e64 s[78:79], v58, v58                         // 000000008C98: D048004E 0002753A
	v_add3_u32 v248, v58, v251, 1                              // 000000008CA0: D1FF00F8 0207F73A
	v_cndmask_b32_e64 v28, v248, v250, s[78:79]                // 000000008CA8: D100001C 013BF5F8
	v_cmp_u_f32_e64 s[78:79], v59, v59                         // 000000008CB0: D048004E 0002773B
	v_add3_u32 v248, v59, v251, 1                              // 000000008CB8: D1FF00F8 0207F73B
	v_cndmask_b32_e64 v29, v248, v250, s[78:79]                // 000000008CC0: D100001D 013BF5F8
	v_perm_b32 v149, v29, v28, s64                             // 000000008CC8: D1ED0095 0102391D
	v_mfma_f32_16x16x16_bf16 v[80:83], v[104:105], a[140:141], v[80:83]// 000000008CD0: D3E10050 15431968
	v_add_u32_e32 v7, s66, v7                                  // 000000008CD8: 680E0E42
	v_add_u32_e32 v8, s66, v8                                  // 000000008CDC: 68101042
	v_mfma_f32_16x16x16_bf16 v[80:83], v[106:107], a[142:143], v[80:83]// 000000008CE0: D3E10050 15431D6A
	s_waitcnt lgkmcnt(0)                                       // 000000008CE8: BF8CC07F
	s_barrier                                                  // 000000008CEC: BF8A0000
	v_mfma_f32_16x16x16_bf16 v[152:155], v[108:109], v[144:145], v[152:155]// 000000008CF0: D3E10098 0663216C
	v_subrev_f32_dpp v72, v150, v72 quad_perm:[0,0,0,0] row_mask:0xf bank_mask:0xf// 000000008CF8: 069090FA FF000096
	v_subrev_f32_dpp v73, v150, v73 quad_perm:[1,1,1,1] row_mask:0xf bank_mask:0xf// 000000008D00: 069292FA FF005596
	v_subrev_f32_dpp v74, v150, v74 quad_perm:[2,2,2,2] row_mask:0xf bank_mask:0xf// 000000008D08: 069494FA FF00AA96
	v_mfma_f32_16x16x16_bf16 v[156:159], v[110:111], v[144:145], v[156:159]// 000000008D10: D3E1009C 0673216E
	v_subrev_f32_dpp v75, v150, v75 quad_perm:[3,3,3,3] row_mask:0xf bank_mask:0xf// 000000008D18: 069696FA FF00FF96
	v_subrev_f32_dpp v76, v150, v76 quad_perm:[0,0,0,0] row_mask:0xf bank_mask:0xf// 000000008D20: 069898FA FF000096
	v_subrev_f32_dpp v77, v150, v77 quad_perm:[1,1,1,1] row_mask:0xf bank_mask:0xf// 000000008D28: 069A9AFA FF005596
	v_mfma_f32_16x16x16_bf16 v[160:163], v[112:113], v[144:145], v[160:163]// 000000008D30: D3E100A0 06832170
	v_mul_f32_e32 v72, v48, v72                                // 000000008D38: 0A909130
	v_mul_f32_e32 v73, v49, v73                                // 000000008D3C: 0A929331
	v_mul_f32_e32 v74, v50, v74                                // 000000008D40: 0A949532
	v_mfma_f32_16x16x16_bf16 v[164:167], v[114:115], v[144:145], v[164:167]// 000000008D44: D3E100A4 06932172
	v_mul_f32_e32 v75, v51, v75                                // 000000008D4C: 0A969733
	v_mul_f32_e32 v76, v52, v76                                // 000000008D50: 0A989934
	v_mul_f32_e32 v77, v53, v77                                // 000000008D54: 0A9A9B35
	v_mfma_f32_16x16x16_bf16 v[168:171], v[116:117], v[144:145], v[168:171]// 000000008D58: D3E100A8 06A32174
	v_cmp_u_f32_e64 s[78:79], v72, v72                         // 000000008D60: D048004E 00029148
	v_add3_u32 v248, v72, v251, 1                              // 000000008D68: D1FF00F8 0207F748
	v_cndmask_b32_e64 v28, v248, v250, s[78:79]                // 000000008D70: D100001C 013BF5F8
	v_cmp_u_f32_e64 s[78:79], v73, v73                         // 000000008D78: D048004E 00029349
	v_add3_u32 v248, v73, v251, 1                              // 000000008D80: D1FF00F8 0207F749
	v_cndmask_b32_e64 v29, v248, v250, s[78:79]                // 000000008D88: D100001D 013BF5F8
	v_perm_b32 v72, v29, v28, s64                              // 000000008D90: D1ED0048 0102391D
	v_cmp_u_f32_e64 s[78:79], v74, v74                         // 000000008D98: D048004E 0002954A
	v_add3_u32 v248, v74, v251, 1                              // 000000008DA0: D1FF00F8 0207F74A
	v_cndmask_b32_e64 v28, v248, v250, s[78:79]                // 000000008DA8: D100001C 013BF5F8
	v_cmp_u_f32_e64 s[78:79], v75, v75                         // 000000008DB0: D048004E 0002974B
	v_add3_u32 v248, v75, v251, 1                              // 000000008DB8: D1FF00F8 0207F74B
	v_cndmask_b32_e64 v29, v248, v250, s[78:79]                // 000000008DC0: D100001D 013BF5F8
	v_perm_b32 v73, v29, v28, s64                              // 000000008DC8: D1ED0049 0102391D
	v_cmp_u_f32_e64 s[78:79], v76, v76                         // 000000008DD0: D048004E 0002994C
	v_add3_u32 v248, v76, v251, 1                              // 000000008DD8: D1FF00F8 0207F74C
	v_cndmask_b32_e64 v28, v248, v250, s[78:79]                // 000000008DE0: D100001C 013BF5F8
	v_cmp_u_f32_e64 s[78:79], v77, v77                         // 000000008DE8: D048004E 00029B4D
	v_add3_u32 v248, v77, v251, 1                              // 000000008DF0: D1FF00F8 0207F74D
	v_cndmask_b32_e64 v29, v248, v250, s[78:79]                // 000000008DF8: D100001D 013BF5F8
	v_perm_b32 v74, v29, v28, s64                              // 000000008E00: D1ED004A 0102391D
	v_mfma_f32_16x16x16_bf16 v[172:175], v[118:119], v[144:145], v[172:175]// 000000008E08: D3E100AC 06B32176
	v_mov_b32_dpp v16, v72 quad_perm:[1,0,3,2] row_mask:0xf bank_mask:0xf// 000000008E10: 7E2002FA FF00B148
	v_perm_b32 v48, v16, v72, v15                              // 000000008E18: D1ED0030 043E9110
	v_mov_b32_dpp v16, v73 quad_perm:[1,0,3,2] row_mask:0xf bank_mask:0xf// 000000008E20: 7E2002FA FF00B149
	v_mfma_f32_16x16x16_bf16 v[176:179], v[120:121], v[144:145], v[176:179]// 000000008E28: D3E100B0 06C32178
	ds_write_b32 v18, v48 offset:17408                         // 000000008E30: D81A4400 00003012
	v_mfma_f32_16x16x16_bf16 v[180:183], v[122:123], v[144:145], v[180:183]// 000000008E38: D3E100B4 06D3217A
	v_perm_b32 v49, v16, v73, v15                              // 000000008E40: D1ED0031 043E9310
	v_mov_b32_dpp v16, v74 quad_perm:[1,0,3,2] row_mask:0xf bank_mask:0xf// 000000008E48: 7E2002FA FF00B14A
	v_perm_b32 v50, v16, v74, v15                              // 000000008E50: D1ED0032 043E9510
	v_mfma_f32_16x16x16_bf16 v[184:187], v[108:109], v[146:147], v[184:187]// 000000008E58: D3E100B8 06E3256C
	ds_write_b32 v18, v49 offset:17952                         // 000000008E60: D81A4620 00003112
	v_mfma_f32_16x16x16_bf16 v[188:191], v[110:111], v[146:147], v[188:191]// 000000008E68: D3E100BC 06F3256E
	v_subrev_f32_dpp v78, v150, v78 quad_perm:[2,2,2,2] row_mask:0xf bank_mask:0xf// 000000008E70: 069C9CFA FF00AA96
	v_subrev_f32_dpp v79, v150, v79 quad_perm:[3,3,3,3] row_mask:0xf bank_mask:0xf// 000000008E78: 069E9EFA FF00FF96
	v_subrev_f32_dpp v80, v150, v80 quad_perm:[0,0,0,0] row_mask:0xf bank_mask:0xf// 000000008E80: 06A0A0FA FF000096
	v_mfma_f32_16x16x16_bf16 v[192:195], v[112:113], v[146:147], v[192:195]// 000000008E88: D3E100C0 07032570
	ds_write_b32 v18, v50 offset:19712                         // 000000008E90: D81A4D00 00003212
	v_mfma_f32_16x16x16_bf16 v[196:199], v[114:115], v[146:147], v[196:199]// 000000008E98: D3E100C4 07132572
	v_subrev_f32_dpp v81, v150, v81 quad_perm:[1,1,1,1] row_mask:0xf bank_mask:0xf// 000000008EA0: 06A2A2FA FF005596
	v_subrev_f32_dpp v82, v150, v82 quad_perm:[2,2,2,2] row_mask:0xf bank_mask:0xf// 000000008EA8: 06A4A4FA FF00AA96
	v_subrev_f32_dpp v83, v150, v83 quad_perm:[3,3,3,3] row_mask:0xf bank_mask:0xf// 000000008EB0: 06A6A6FA FF00FF96
	v_mfma_f32_16x16x16_bf16 v[200:203], v[116:117], v[146:147], v[200:203]// 000000008EB8: D3E100C8 07232574
	v_mul_f32_e32 v78, v54, v78                                // 000000008EC0: 0A9C9D36
	v_mul_f32_e32 v79, v55, v79                                // 000000008EC4: 0A9E9F37
	v_mul_f32_e32 v80, v56, v80                                // 000000008EC8: 0AA0A138
	v_mfma_f32_16x16x16_bf16 v[204:207], v[118:119], v[146:147], v[204:207]// 000000008ECC: D3E100CC 07332576
	v_mul_f32_e32 v81, v57, v81                                // 000000008ED4: 0AA2A339
	v_mul_f32_e32 v82, v58, v82                                // 000000008ED8: 0AA4A53A
	v_mul_f32_e32 v83, v59, v83                                // 000000008EDC: 0AA6A73B
	v_mfma_f32_16x16x16_bf16 v[208:211], v[120:121], v[146:147], v[208:211]// 000000008EE0: D3E100D0 07432578
	v_cmp_u_f32_e64 s[78:79], v78, v78                         // 000000008EE8: D048004E 00029D4E
	v_add3_u32 v248, v78, v251, 1                              // 000000008EF0: D1FF00F8 0207F74E
	v_cndmask_b32_e64 v28, v248, v250, s[78:79]                // 000000008EF8: D100001C 013BF5F8
	v_cmp_u_f32_e64 s[78:79], v79, v79                         // 000000008F00: D048004E 00029F4F
	v_add3_u32 v248, v79, v251, 1                              // 000000008F08: D1FF00F8 0207F74F
	v_cndmask_b32_e64 v29, v248, v250, s[78:79]                // 000000008F10: D100001D 013BF5F8
	v_perm_b32 v75, v29, v28, s64                              // 000000008F18: D1ED004B 0102391D
	v_cmp_u_f32_e64 s[78:79], v80, v80                         // 000000008F20: D048004E 0002A150
	v_add3_u32 v248, v80, v251, 1                              // 000000008F28: D1FF00F8 0207F750
	v_cndmask_b32_e64 v28, v248, v250, s[78:79]                // 000000008F30: D100001C 013BF5F8
	v_cmp_u_f32_e64 s[78:79], v81, v81                         // 000000008F38: D048004E 0002A351
	v_add3_u32 v248, v81, v251, 1                              // 000000008F40: D1FF00F8 0207F751
	v_cndmask_b32_e64 v29, v248, v250, s[78:79]                // 000000008F48: D100001D 013BF5F8
	v_perm_b32 v76, v29, v28, s64                              // 000000008F50: D1ED004C 0102391D
	v_cmp_u_f32_e64 s[78:79], v82, v82                         // 000000008F58: D048004E 0002A552
	v_add3_u32 v248, v82, v251, 1                              // 000000008F60: D1FF00F8 0207F752
	v_cndmask_b32_e64 v28, v248, v250, s[78:79]                // 000000008F68: D100001C 013BF5F8
	v_cmp_u_f32_e64 s[78:79], v83, v83                         // 000000008F70: D048004E 0002A753
	v_add3_u32 v248, v83, v251, 1                              // 000000008F78: D1FF00F8 0207F753
	v_cndmask_b32_e64 v29, v248, v250, s[78:79]                // 000000008F80: D100001D 013BF5F8
	v_perm_b32 v77, v29, v28, s64                              // 000000008F88: D1ED004D 0102391D
	v_mfma_f32_16x16x16_bf16 v[212:215], v[122:123], v[146:147], v[212:215]// 000000008F90: D3E100D4 0753257A
	v_mov_b32_dpp v16, v75 quad_perm:[1,0,3,2] row_mask:0xf bank_mask:0xf// 000000008F98: 7E2002FA FF00B14B
	v_perm_b32 v51, v16, v75, v15                              // 000000008FA0: D1ED0033 043E9710
	v_mov_b32_dpp v16, v76 quad_perm:[1,0,3,2] row_mask:0xf bank_mask:0xf// 000000008FA8: 7E2002FA FF00B14C
	v_mfma_f32_16x16x16_bf16 v[216:219], v[108:109], v[148:149], v[216:219]// 000000008FB0: D3E100D8 0763296C
	ds_write_b32 v18, v51 offset:20256                         // 000000008FB8: D81A4F20 00003312
	v_mfma_f32_16x16x16_bf16 v[220:223], v[110:111], v[148:149], v[220:223]// 000000008FC0: D3E100DC 0773296E
	v_perm_b32 v52, v16, v76, v15                              // 000000008FC8: D1ED0034 043E9910
	v_mov_b32_dpp v16, v77 quad_perm:[1,0,3,2] row_mask:0xf bank_mask:0xf// 000000008FD0: 7E2002FA FF00B14D
	v_perm_b32 v53, v16, v77, v15                              // 000000008FD8: D1ED0035 043E9B10
	v_mfma_f32_16x16x16_bf16 v[224:227], v[112:113], v[148:149], v[224:227]// 000000008FE0: D3E100E0 07832970
	ds_write_b32 v18, v52 offset:22016                         // 000000008FE8: D81A5600 00003412
	ds_write_b32 v18, v53 offset:22560                         // 000000008FF0: D81A5820 00003512
	v_mfma_f32_16x16x16_bf16 v[228:231], v[114:115], v[148:149], v[228:231]// 000000008FF8: D3E100E4 07932972
	v_mfma_f32_16x16x16_bf16 v[232:235], v[116:117], v[148:149], v[232:235]// 000000009000: D3E100E8 07A32974
	ds_write_b32 v13, v84 offset:4352                          // 000000009008: D81A1100 0000540D
	ds_write_b32 v13, v85 offset:5408                          // 000000009010: D81A1520 0000550D
	v_mfma_f32_16x16x16_bf16 v[236:239], v[118:119], v[148:149], v[236:239]// 000000009018: D3E100EC 07B32976
	v_mfma_f32_16x16x16_bf16 v[240:243], v[120:121], v[148:149], v[240:243]// 000000009020: D3E100F0 07C32978
	ds_write_b32 v13, v86 offset:4480                          // 000000009028: D81A1180 0000560D
	ds_write_b32 v13, v87 offset:5536                          // 000000009030: D81A15A0 0000570D
	v_mfma_f32_16x16x16_bf16 v[244:247], v[122:123], v[148:149], v[244:247]// 000000009038: D3E100F4 07D3297A
	s_nop 0                                                    // 000000009040: BF800000
	s_nop 0                                                    // 000000009044: BF800000
	;; [unrolled: 1-line block ×3, first 2 shown]
	s_barrier                                                  // 00000000904C: BF8A0000
	v_mfma_f32_16x16x16_bf16 a[160:163], a[144:145], v[72:73], a[160:163]// 000000009050: D3E180A0 0E829190
	ds_read_b32 v124, v21 offset:51200                         // 000000009058: D86CC800 7C000015
	ds_read_b32 v150, v21 offset:51456                         // 000000009060: D86CC900 96000015
	v_mfma_f32_16x16x16_bf16 a[164:167], a[146:147], v[72:73], a[164:167]// 000000009068: D3E180A4 0E929192
	buffer_atomic_add_f32 v136, v7, s[32:35], 0 offen          // 000000009070: E1341000 80088807
	v_mfma_f32_16x16x16_bf16 a[168:171], a[148:149], v[72:73], a[168:171]// 000000009078: D3E180A8 0EA29194
	s_waitcnt lgkmcnt(6)                                       // 000000009080: BF8CC67F
	s_barrier                                                  // 000000009084: BF8A0000
	v_mfma_f32_16x16x16_bf16 a[172:175], a[150:151], v[72:73], a[172:175]// 000000009088: D3E180AC 0EB29196
	v_mfma_f32_16x16x16_bf16 a[176:179], a[152:153], v[72:73], a[176:179]// 000000009090: D3E180B0 0EC29198
	ds_read_b128 v[48:51], v17 offset:17408                    // 000000009098: D9FE4400 30000011
	v_mfma_f32_16x16x16_bf16 a[180:183], a[154:155], v[72:73], a[180:183]// 0000000090A0: D3E180B4 0ED2919A
	v_mfma_f32_16x16x16_bf16 a[184:187], a[156:157], v[72:73], a[184:187]// 0000000090A8: D3E180B8 0EE2919C
	ds_read_b128 v[52:55], v17 offset:18560                    // 0000000090B0: D9FE4880 34000011
	v_mfma_f32_16x16x16_bf16 a[188:191], a[158:159], v[72:73], a[188:191]// 0000000090B8: D3E180BC 0EF2919E
	buffer_atomic_add_f32 v137, v8, s[32:35], 0 offen          // 0000000090C0: E1341000 80088908
	v_mfma_f32_16x16x16_bf16 a[192:195], a[144:145], v[74:75], a[192:195]// 0000000090C8: D3E180C0 0F029590
	ds_read_b128 v[56:59], v17 offset:19712                    // 0000000090D0: D9FE4D00 38000011
	v_mfma_f32_16x16x16_bf16 a[196:199], a[146:147], v[74:75], a[196:199]// 0000000090D8: D3E180C4 0F129592
	v_mfma_f32_16x16x16_bf16 a[200:203], a[148:149], v[74:75], a[200:203]// 0000000090E0: D3E180C8 0F229594
	ds_read_b128 v[60:63], v17 offset:20864                    // 0000000090E8: D9FE5180 3C000011
	v_mfma_f32_16x16x16_bf16 a[204:207], a[150:151], v[74:75], a[204:207]// 0000000090F0: D3E180CC 0F329596
	v_mfma_f32_16x16x16_bf16 a[208:211], a[152:153], v[74:75], a[208:211]// 0000000090F8: D3E180D0 0F429598
	ds_read_b128 v[64:67], v17 offset:22016                    // 000000009100: D9FE5600 40000011
	v_mfma_f32_16x16x16_bf16 a[212:215], a[154:155], v[74:75], a[212:215]// 000000009108: D3E180D4 0F52959A
	buffer_atomic_add_f32 v138, v7, s[32:35], 0 offen offset:128// 000000009110: E1341080 80088A07
	v_mfma_f32_16x16x16_bf16 a[216:219], a[156:157], v[74:75], a[216:219]// 000000009118: D3E180D8 0F62959C
	ds_read_b128 v[68:71], v17 offset:23168                    // 000000009120: D9FE5A80 44000011
	v_mfma_f32_16x16x16_bf16 a[220:223], a[158:159], v[74:75], a[220:223]// 000000009128: D3E180DC 0F72959E
	v_mfma_f32_16x16x16_bf16 a[224:227], a[144:145], v[76:77], a[224:227]// 000000009130: D3E180E0 0F829990
	ds_write_b32 v13, v88 offset:13056                         // 000000009138: D81A3300 0000580D
	v_mfma_f32_16x16x16_bf16 a[228:231], a[146:147], v[76:77], a[228:231]// 000000009140: D3E180E4 0F929992
	v_mfma_f32_16x16x16_bf16 a[232:235], a[148:149], v[76:77], a[232:235]// 000000009148: D3E180E8 0FA29994
	ds_write_b32 v13, v89 offset:14112                         // 000000009150: D81A3720 0000590D
	v_mfma_f32_16x16x16_bf16 a[236:239], a[150:151], v[76:77], a[236:239]// 000000009158: D3E180EC 0FB29996
	buffer_atomic_add_f32 v139, v8, s[32:35], 0 offen offset:128// 000000009160: E1341080 80088B08
	v_mfma_f32_16x16x16_bf16 a[240:243], a[152:153], v[76:77], a[240:243]// 000000009168: D3E180F0 0FC29998
	ds_write_b32 v13, v90 offset:13184                         // 000000009170: D81A3380 00005A0D
	v_mfma_f32_16x16x16_bf16 a[244:247], a[154:155], v[76:77], a[244:247]// 000000009178: D3E180F4 0FD2999A
	v_mfma_f32_16x16x16_bf16 a[248:251], a[156:157], v[76:77], a[248:251]// 000000009180: D3E180F8 0FE2999C
	ds_write_b32 v13, v91 offset:14240                         // 000000009188: D81A37A0 00005B0D
	v_mfma_f32_16x16x16_bf16 a[252:255], a[158:159], v[76:77], a[252:255]// 000000009190: D3E180FC 0FF2999E
	s_waitcnt vmcnt(8) lgkmcnt(4)                              // 000000009198: BF8C0478
	s_barrier                                                  // 00000000919C: BF8A0000
	v_mfma_f32_16x16x16_bf16 v[128:131], v[48:49], a[48:49], 0 // 0000000091A0: D3E10080 12026130
	ds_read_b128 a[144:147], v10                               // 0000000091A8: DBFE0000 9000000A
	v_mov_b32_e32 v36, 0                                       // 0000000091B0: 7E480280
	s_mov_b64 exec, s[90:91]                                   // 0000000091B4: BEFE015A
	buffer_load_dword v36, v1, s[8:11], 0 idxen                // 0000000091B8: E0502000 80022401
	s_mov_b32 exec_lo, -1                                      // 0000000091C0: BEFE00C1
	s_mov_b32 exec_hi, -1                                      // 0000000091C4: BEFF00C1
	v_mfma_f32_16x16x16_bf16 v[128:131], v[50:51], a[52:53], v[128:131]// 0000000091C8: D3E10080 16026932
	v_mul_f32_e32 v124, s48, v124                              // 0000000091D0: 0AF8F830
	s_nop 0                                                    // 0000000091D4: BF800000
	v_mfma_f32_16x16x16_bf16 v[128:131], v[52:53], a[56:57], v[128:131]// 0000000091D8: D3E10080 16027134
	ds_read_b128 a[148:151], v10 offset:512                    // 0000000091E0: DBFE0200 9400000A
	v_mov_b32_e32 v37, 0                                       // 0000000091E8: 7E4A0280
	s_mov_b64 exec, s[90:91]                                   // 0000000091EC: BEFE015A
	buffer_load_dword v37, v2, s[8:11], 0 idxen                // 0000000091F0: E0502000 80022502
	s_mov_b32 exec_lo, -1                                      // 0000000091F8: BEFE00C1
	s_mov_b32 exec_hi, -1                                      // 0000000091FC: BEFF00C1
	v_mfma_f32_16x16x16_bf16 v[128:131], v[54:55], a[60:61], v[128:131]// 000000009200: D3E10080 16027936
	v_mfma_f32_16x16x16_bf16 v[128:131], v[56:57], a[64:65], v[128:131]// 000000009208: D3E10080 16028138
	ds_read_b128 a[152:155], v10 offset:2176                   // 000000009210: DBFE0880 9800000A
	v_mov_b32_e32 v38, 0                                       // 000000009218: 7E4C0280
	s_mov_b64 exec, s[90:91]                                   // 00000000921C: BEFE015A
	buffer_load_dword v38, v3, s[8:11], 0 idxen                // 000000009220: E0502000 80022603
	s_mov_b32 exec_lo, -1                                      // 000000009228: BEFE00C1
	s_mov_b32 exec_hi, -1                                      // 00000000922C: BEFF00C1
	v_mfma_f32_16x16x16_bf16 v[128:131], v[58:59], a[68:69], v[128:131]// 000000009230: D3E10080 1602893A
	v_perm_b32 v84, v33, v32, s63                              // 000000009238: D1ED0054 00FE4121
	v_perm_b32 v85, v33, v32, s64                              // 000000009240: D1ED0055 01024121
	v_mfma_f32_16x16x16_bf16 v[128:131], v[60:61], a[72:73], v[128:131]// 000000009248: D3E10080 1602913C
	ds_read_b128 a[156:159], v10 offset:2688                   // 000000009250: DBFE0A80 9C00000A
	v_mov_b32_e32 v39, 0                                       // 000000009258: 7E4E0280
	s_mov_b64 exec, s[90:91]                                   // 00000000925C: BEFE015A
	buffer_load_dword v39, v4, s[8:11], 0 idxen                // 000000009260: E0502000 80022704
	s_mov_b32 exec_lo, -1                                      // 000000009268: BEFE00C1
	s_mov_b32 exec_hi, -1                                      // 00000000926C: BEFF00C1
	v_mfma_f32_16x16x16_bf16 v[128:131], v[62:63], a[76:77], v[128:131]// 000000009270: D3E10080 1602993E
	v_perm_b32 v86, v35, v34, s63                              // 000000009278: D1ED0056 00FE4523
	v_perm_b32 v87, v35, v34, s64                              // 000000009280: D1ED0057 01024523
	v_mfma_f32_16x16x16_bf16 v[128:131], v[64:65], a[80:81], v[128:131]// 000000009288: D3E10080 1602A140
	ds_read_b128 v[92:95], v10 offset:8704                     // 000000009290: D9FE2200 5C00000A
	v_mov_b32_e32 v44, 0                                       // 000000009298: 7E580280
	s_mov_b64 exec, s[90:91]                                   // 00000000929C: BEFE015A
	buffer_load_dword v44, v252, s[20:23], 0 idxen             // 0000000092A0: E0502000 80052CFC
	s_mov_b32 exec_lo, -1                                      // 0000000092A8: BEFE00C1
	s_mov_b32 exec_hi, -1                                      // 0000000092AC: BEFF00C1
	v_mfma_f32_16x16x16_bf16 v[128:131], v[66:67], a[84:85], v[128:131]// 0000000092B0: D3E10080 1602A942
	v_perm_b32 v88, v41, v40, s63                              // 0000000092B8: D1ED0058 00FE5129
	v_perm_b32 v89, v41, v40, s64                              // 0000000092C0: D1ED0059 01025129
	v_mfma_f32_16x16x16_bf16 v[128:131], v[68:69], a[88:89], v[128:131]// 0000000092C8: D3E10080 1602B144
	ds_read_b128 v[96:99], v10 offset:9216                     // 0000000092D0: D9FE2400 6000000A
	v_mov_b32_e32 v45, 0                                       // 0000000092D8: 7E5A0280
	s_mov_b64 exec, s[90:91]                                   // 0000000092DC: BEFE015A
	buffer_load_dword v45, v253, s[20:23], 0 idxen             // 0000000092E0: E0502000 80052DFD
	s_mov_b32 exec_lo, -1                                      // 0000000092E8: BEFE00C1
	s_mov_b32 exec_hi, -1                                      // 0000000092EC: BEFF00C1
	v_mfma_f32_16x16x16_bf16 v[128:131], v[70:71], a[92:93], v[128:131]// 0000000092F0: D3E10080 1602B946
	v_perm_b32 v90, v43, v42, s63                              // 0000000092F8: D1ED005A 00FE552B
	v_perm_b32 v91, v43, v42, s64                              // 000000009300: D1ED005B 0102552B
	v_mfma_f32_16x16x16_bf16 v[132:135], v[48:49], a[50:51], 0 // 000000009308: D3E10084 12026530
	ds_read_b128 v[100:103], v10 offset:10880                  // 000000009310: D9FE2A80 6400000A
	v_mov_b32_e32 v46, 0                                       // 000000009318: 7E5C0280
	s_mov_b64 exec, s[90:91]                                   // 00000000931C: BEFE015A
	buffer_load_dword v46, v254, s[20:23], 0 idxen             // 000000009320: E0502000 80052EFE
	s_mov_b32 exec_lo, -1                                      // 000000009328: BEFE00C1
	s_mov_b32 exec_hi, -1                                      // 00000000932C: BEFF00C1
	v_mfma_f32_16x16x16_bf16 v[132:135], v[50:51], a[54:55], v[132:135]// 000000009330: D3E10084 16126D32
	v_mov_b32_dpp v127, v124 quad_perm:[3,3,3,3] row_mask:0xf bank_mask:0xf// 000000009338: 7EFE02FA FF00FF7C
	v_mov_b32_dpp v126, v124 quad_perm:[2,2,2,2] row_mask:0xf bank_mask:0xf// 000000009340: 7EFC02FA FF00AA7C
	v_mfma_f32_16x16x16_bf16 v[132:135], v[52:53], a[58:59], v[132:135]// 000000009348: D3E10084 16127534
	ds_read_b128 v[104:107], v10 offset:11392                  // 000000009350: D9FE2C80 6800000A
	v_mov_b32_e32 v47, 0                                       // 000000009358: 7E5E0280
	s_mov_b64 exec, s[90:91]                                   // 00000000935C: BEFE015A
	buffer_load_dword v47, v255, s[20:23], 0 idxen             // 000000009360: E0502000 80052FFF
	s_mov_b32 exec_lo, -1                                      // 000000009368: BEFE00C1
	s_mov_b32 exec_hi, -1                                      // 00000000936C: BEFF00C1
	v_mfma_f32_16x16x16_bf16 v[132:135], v[54:55], a[62:63], v[132:135]// 000000009370: D3E10084 16127D36
	v_mov_b32_dpp v125, v124 quad_perm:[1,1,1,1] row_mask:0xf bank_mask:0xf// 000000009378: 7EFA02FA FF00557C
	v_mov_b32_dpp v124, v124 quad_perm:[0,0,0,0] row_mask:0xf bank_mask:0xf// 000000009380: 7EF802FA FF00007C
	s_add_u32 s60, 64, s59                                     // 000000009388: 803C3BC0
	v_mfma_f32_16x16x16_bf16 v[132:135], v[56:57], a[66:67], v[132:135]// 00000000938C: D3E10084 16128538
	buffer_load_dword v9, s[24:27], 0 idxen lds                // 000000009394: E0512000 80060009
	v_mfma_f32_16x16x16_bf16 v[132:135], v[58:59], a[70:71], v[132:135]// 00000000939C: D3E10084 16128D3A
	s_cmp_lt_u32 s60, s58                                      // 0000000093A4: BF0A3A3C
	s_cselect_b32 s68, s68, 0                                  // 0000000093A8: 85448044
	s_cselect_b32 s99, s99, 0                                  // 0000000093AC: 85638063
	s_cselect_b32 s69, s69, 0                                  // 0000000093B0: 85458045
	v_mfma_f32_16x16x16_bf16 v[132:135], v[60:61], a[74:75], v[132:135]// 0000000093B4: D3E10084 1612953C
	v_add_u32_e32 v1, s68, v1                                  // 0000000093BC: 68020244
	v_add_u32_e32 v2, s68, v2                                  // 0000000093C0: 68040444
	v_add_u32_e32 v3, s68, v3                                  // 0000000093C4: 68060644
	v_add_u32_e32 v4, s68, v4                                  // 0000000093C8: 68080844
	v_mfma_f32_16x16x16_bf16 v[132:135], v[62:63], a[78:79], v[132:135]// 0000000093CC: D3E10084 16129D3E
	v_add_u32_e32 v252, s99, v252                              // 0000000093D4: 69F9F863
	v_add_u32_e32 v253, s99, v253                              // 0000000093D8: 69FBFA63
	v_add_u32_e32 v254, s99, v254                              // 0000000093DC: 69FDFC63
	v_add_u32_e32 v255, s99, v255                              // 0000000093E0: 69FFFE63
	v_mfma_f32_16x16x16_bf16 v[132:135], v[64:65], a[82:83], v[132:135]// 0000000093E4: D3E10084 1612A540
	s_mov_b32 m0, s80                                          // 0000000093EC: BEFC0050
	v_add_u32_e32 v9, s69, v9                                  // 0000000093F0: 68121245
	v_mfma_f32_16x16x16_bf16 v[132:135], v[66:67], a[86:87], v[132:135]// 0000000093F4: D3E10084 1612AD42
	s_cmp_ge_u32 s59, s73                                      // 0000000093FC: BF09493B
	s_cselect_b32 s66, s67, s66                                // 000000009400: 85424243
	v_mfma_f32_16x16x16_bf16 v[132:135], v[68:69], a[90:91], v[132:135]// 000000009404: D3E10084 1612B544
	s_addk_i32 s59, 0x10                                       // 00000000940C: B73B0010
	s_nop 0                                                    // 000000009410: BF800000
	s_cmp_lt_i32 s59, s58                                      // 000000009414: BF043A3B
	v_mfma_f32_16x16x16_bf16 v[132:135], v[70:71], a[94:95], v[132:135]// 000000009418: D3E10084 1612BD46
	s_cbranch_scc0 label_11DB                                  // 000000009420: BF84FC48
	s_waitcnt lgkmcnt(0)                                       // 000000009424: BF8CC07F
	s_barrier                                                  // 000000009428: BF8A0000
	v_mfma_f32_16x16x16_bf16 v[48:51], a[144:145], a[0:1], 0   // 00000000942C: D3E10030 1A020190
	v_mul_f32_e32 v128, s47, v128                              // 000000009434: 0B01002F
	v_mul_f32_e32 v129, s47, v129                              // 000000009438: 0B03022F
	v_mfma_f32_16x16x16_bf16 v[48:51], a[146:147], a[2:3], v[48:51]// 00000000943C: D3E10030 1CC20592
	ds_write_b32 v11, v40 offset:8704                          // 000000009444: D81A2200 0000280B
	ds_write_b32 v11, v41 offset:9760                          // 00000000944C: D81A2620 0000290B
	v_mfma_f32_16x16x16_bf16 v[48:51], a[148:149], a[4:5], v[48:51]// 000000009454: D3E10030 1CC20994
	v_mul_f32_e32 v130, s47, v130                              // 00000000945C: 0B05042F
	v_mul_f32_e32 v131, s47, v131                              // 000000009460: 0B07062F
	v_mfma_f32_16x16x16_bf16 v[48:51], a[150:151], a[6:7], v[48:51]// 000000009464: D3E10030 1CC20D96
	ds_write_b32 v11, v42 offset:8832                          // 00000000946C: D81A2280 00002A0B
	ds_write_b32 v11, v43 offset:9888                          // 000000009474: D81A26A0 00002B0B
	v_mfma_f32_16x16x16_bf16 v[48:51], a[152:153], a[8:9], v[48:51]// 00000000947C: D3E10030 1CC21198
	v_mul_f32_e32 v132, s47, v132                              // 000000009484: 0B09082F
	v_mul_f32_e32 v133, s47, v133                              // 000000009488: 0B0B0A2F
	v_mfma_f32_16x16x16_bf16 v[48:51], a[154:155], a[10:11], v[48:51]// 00000000948C: D3E10030 1CC2159A
	ds_write_b64 v20, v[128:129] offset:24320                  // 000000009494: D89A5F00 00008014
	v_mfma_f32_16x16x16_bf16 v[48:51], a[156:157], a[12:13], v[48:51]// 00000000949C: D3E10030 1CC2199C
	v_mul_f32_e32 v134, s47, v134                              // 0000000094A4: 0B0D0C2F
	v_mul_f32_e32 v135, s47, v135                              // 0000000094A8: 0B0F0E2F
	v_mfma_f32_16x16x16_bf16 v[48:51], a[158:159], a[14:15], v[48:51]// 0000000094AC: D3E10030 1CC21D9E
	ds_write_b64 v20, v[130:131] offset:24832                  // 0000000094B4: D89A6100 00008214
	v_mfma_f32_16x16x16_bf16 v[52:55], a[144:145], a[16:17], 0 // 0000000094BC: D3E10034 1A022190
	buffer_atomic_add_f32 v140, v7, s[32:35], 0 offen offset:256// 0000000094C4: E1341100 80088C07
	v_mfma_f32_16x16x16_bf16 v[52:55], a[146:147], a[18:19], v[52:55]// 0000000094CC: D3E10034 1CD22592
	ds_write_b64 v20, v[132:133] offset:25344                  // 0000000094D4: D89A6300 00008414
	v_mfma_f32_16x16x16_bf16 v[52:55], a[148:149], a[20:21], v[52:55]// 0000000094DC: D3E10034 1CD22994
	v_mfma_f32_16x16x16_bf16 v[52:55], a[150:151], a[22:23], v[52:55]// 0000000094E4: D3E10034 1CD22D96
	ds_write_b64 v20, v[134:135] offset:25856                  // 0000000094EC: D89A6500 00008614
	v_mfma_f32_16x16x16_bf16 v[52:55], a[152:153], a[24:25], v[52:55]// 0000000094F4: D3E10034 1CD23198
	buffer_atomic_add_f32 v141, v8, s[32:35], 0 offen offset:256// 0000000094FC: E1341100 80088D08
	v_mfma_f32_16x16x16_bf16 v[52:55], a[154:155], a[26:27], v[52:55]// 000000009504: D3E10034 1CD2359A
	ds_read_b128 v[108:111], v12 offset:13056                  // 00000000950C: D9FE3300 6C00000C
	ds_write_b32 v11, v32                                      // 000000009514: D81A0000 0000200B
	v_mfma_f32_16x16x16_bf16 v[52:55], a[156:157], a[28:29], v[52:55]// 00000000951C: D3E10034 1CD2399C
	v_mfma_f32_16x16x16_bf16 v[52:55], a[158:159], a[30:31], v[52:55]// 000000009524: D3E10034 1CD23D9E
	v_mfma_f32_16x16x16_bf16 v[56:59], a[144:145], a[32:33], 0 // 00000000952C: D3E10038 1A024190
	ds_read_b128 v[112:115], v12 offset:13568                  // 000000009534: D9FE3500 7000000C
	ds_write_b32 v11, v33 offset:1056                          // 00000000953C: D81A0420 0000210B
	v_mfma_f32_16x16x16_bf16 v[56:59], a[146:147], a[34:35], v[56:59]// 000000009544: D3E10038 1CE24592
	buffer_atomic_add_f32 v142, v7, s[32:35], 0 offen offset:384// 00000000954C: E1341180 80088E07
	v_mfma_f32_16x16x16_bf16 v[56:59], a[148:149], a[36:37], v[56:59]// 000000009554: D3E10038 1CE24994
	v_mfma_f32_16x16x16_bf16 v[56:59], a[150:151], a[38:39], v[56:59]// 00000000955C: D3E10038 1CE24D96
	ds_read_b128 v[116:119], v12 offset:15232                  // 000000009564: D9FE3B80 7400000C
	ds_write_b32 v11, v34 offset:128                           // 00000000956C: D81A0080 0000220B
	v_mfma_f32_16x16x16_bf16 v[56:59], a[152:153], a[40:41], v[56:59]// 000000009574: D3E10038 1CE25198
	v_mfma_f32_16x16x16_bf16 v[56:59], a[154:155], a[42:43], v[56:59]// 00000000957C: D3E10038 1CE2559A
	buffer_atomic_add_f32 v143, v8, s[32:35], 0 offen offset:384// 000000009584: E1341180 80088F08
	v_mfma_f32_16x16x16_bf16 v[56:59], a[156:157], a[44:45], v[56:59]// 00000000958C: D3E10038 1CE2599C
	ds_read_b128 v[120:123], v12 offset:15744                  // 000000009594: D9FE3D80 7800000C
	ds_write_b32 v11, v35 offset:1184                          // 00000000959C: D81A04A0 0000230B
	v_mfma_f32_16x16x16_bf16 v[56:59], a[158:159], a[46:47], v[56:59]// 0000000095A4: D3E10038 1CE25D9E
	s_cmp_lt_i32 s74, 12                                       // 0000000095AC: BF048C4A
	s_cbranch_scc0 label_1671                                  // 0000000095B0: BF840075
	s_mov_b32 s60, 0xffe0fffe                                  // 0000000095B4: BEBC00FF FFE0FFFE
	s_mov_b32 s61, 0xe000fe00                                  // 0000000095BC: BEBD00FF E000FE00
	s_nop 0                                                    // 0000000095C4: BF800000
	s_add_u32 s62, 0, s46                                      // 0000000095C8: 803E2E80
	s_cmp_lt_i32 s74, s62                                      // 0000000095CC: BF043E4A
	s_cbranch_scc1 label_162C                                  // 0000000095D0: BF850028
	s_cmp_eq_i32 s74, s62                                      // 0000000095D4: BF003E4A
	s_cbranch_scc1 label_1611                                  // 0000000095D8: BF85000B
	s_add_u32 s62, 4, s46                                      // 0000000095DC: 803E2E84
	s_cmp_lt_i32 s74, s62                                      // 0000000095E0: BF043E4A
	s_cbranch_scc1 label_164C                                  // 0000000095E4: BF850043
	s_cmp_eq_i32 s74, s62                                      // 0000000095E8: BF003E4A
	s_cbranch_scc1 label_1631                                  // 0000000095EC: BF850026
	s_add_u32 s62, 8, s46                                      // 0000000095F0: 803E2E88
	s_cmp_lt_i32 s74, s62                                      // 0000000095F4: BF043E4A
	s_cbranch_scc1 label_166C                                  // 0000000095F8: BF85005E
	s_cmp_eq_i32 s74, s62                                      // 0000000095FC: BF003E4A
	s_cbranch_scc1 label_1651                                  // 000000009600: BF850041
	s_branch label_1671                                        // 000000009604: BF820060

0000000000009608 <label_1611>:
	v_cndmask_b32_e64 v48, v48, v151, s[60:61]                 // 000000009608: D1000030 00F32F30
	s_lshl_b32 s60, s60, 1                                     // 000000009610: 8E3C813C
	s_lshl_b32 s61, s61, 1                                     // 000000009614: 8E3D813D
	s_and_b32 s60, 0xfffeffff, s60                             // 000000009618: 863C3CFF FFFEFFFF
	s_and_b32 s61, 0xfffeffff, s61                             // 000000009620: 863D3DFF FFFEFFFF
	v_cndmask_b32_e64 v49, v49, v151, s[60:61]                 // 000000009628: D1000031 00F32F31
	s_lshl_b32 s60, s60, 1                                     // 000000009630: 8E3C813C
	s_lshl_b32 s61, s61, 1                                     // 000000009634: 8E3D813D
	s_and_b32 s60, 0xfffeffff, s60                             // 000000009638: 863C3CFF FFFEFFFF
	s_and_b32 s61, 0xfffeffff, s61                             // 000000009640: 863D3DFF FFFEFFFF
	v_cndmask_b32_e64 v50, v50, v151, s[60:61]                 // 000000009648: D1000032 00F32F32
	s_lshl_b32 s60, s60, 1                                     // 000000009650: 8E3C813C
	s_lshl_b32 s61, s61, 1                                     // 000000009654: 8E3D813D
	s_and_b32 s60, 0xfffeffff, s60                             // 000000009658: 863C3CFF FFFEFFFF
	s_and_b32 s61, 0xfffeffff, s61                             // 000000009660: 863D3DFF FFFEFFFF
	v_cndmask_b32_e64 v51, v51, v151, s[60:61]                 // 000000009668: D1000033 00F32F33
	s_branch label_164C                                        // 000000009670: BF820020

0000000000009674 <label_162C>:
	v_mov_b32_e32 v48, v151                                    // 000000009674: 7E600397
	v_mov_b32_e32 v49, v151                                    // 000000009678: 7E620397
	v_mov_b32_e32 v50, v151                                    // 00000000967C: 7E640397
	v_mov_b32_e32 v51, v151                                    // 000000009680: 7E660397
	s_branch label_164C                                        // 000000009684: BF82001B

0000000000009688 <label_1631>:
	v_cndmask_b32_e64 v52, v52, v151, s[60:61]                 // 000000009688: D1000034 00F32F34
	s_lshl_b32 s60, s60, 1                                     // 000000009690: 8E3C813C
	s_lshl_b32 s61, s61, 1                                     // 000000009694: 8E3D813D
	s_and_b32 s60, 0xfffeffff, s60                             // 000000009698: 863C3CFF FFFEFFFF
	s_and_b32 s61, 0xfffeffff, s61                             // 0000000096A0: 863D3DFF FFFEFFFF
	v_cndmask_b32_e64 v53, v53, v151, s[60:61]                 // 0000000096A8: D1000035 00F32F35
	s_lshl_b32 s60, s60, 1                                     // 0000000096B0: 8E3C813C
	s_lshl_b32 s61, s61, 1                                     // 0000000096B4: 8E3D813D
	s_and_b32 s60, 0xfffeffff, s60                             // 0000000096B8: 863C3CFF FFFEFFFF
	s_and_b32 s61, 0xfffeffff, s61                             // 0000000096C0: 863D3DFF FFFEFFFF
	v_cndmask_b32_e64 v54, v54, v151, s[60:61]                 // 0000000096C8: D1000036 00F32F36
	s_lshl_b32 s60, s60, 1                                     // 0000000096D0: 8E3C813C
	s_lshl_b32 s61, s61, 1                                     // 0000000096D4: 8E3D813D
	s_and_b32 s60, 0xfffeffff, s60                             // 0000000096D8: 863C3CFF FFFEFFFF
	s_and_b32 s61, 0xfffeffff, s61                             // 0000000096E0: 863D3DFF FFFEFFFF
	v_cndmask_b32_e64 v55, v55, v151, s[60:61]                 // 0000000096E8: D1000037 00F32F37
	s_branch label_166C                                        // 0000000096F0: BF820020

00000000000096f4 <label_164C>:
	v_mov_b32_e32 v52, v151                                    // 0000000096F4: 7E680397
	v_mov_b32_e32 v53, v151                                    // 0000000096F8: 7E6A0397
	v_mov_b32_e32 v54, v151                                    // 0000000096FC: 7E6C0397
	v_mov_b32_e32 v55, v151                                    // 000000009700: 7E6E0397
	s_branch label_166C                                        // 000000009704: BF82001B

0000000000009708 <label_1651>:
	v_cndmask_b32_e64 v56, v56, v151, s[60:61]                 // 000000009708: D1000038 00F32F38
	s_lshl_b32 s60, s60, 1                                     // 000000009710: 8E3C813C
	s_lshl_b32 s61, s61, 1                                     // 000000009714: 8E3D813D
	s_and_b32 s60, 0xfffeffff, s60                             // 000000009718: 863C3CFF FFFEFFFF
	s_and_b32 s61, 0xfffeffff, s61                             // 000000009720: 863D3DFF FFFEFFFF
	v_cndmask_b32_e64 v57, v57, v151, s[60:61]                 // 000000009728: D1000039 00F32F39
	s_lshl_b32 s60, s60, 1                                     // 000000009730: 8E3C813C
	s_lshl_b32 s61, s61, 1                                     // 000000009734: 8E3D813D
	s_and_b32 s60, 0xfffeffff, s60                             // 000000009738: 863C3CFF FFFEFFFF
	s_and_b32 s61, 0xfffeffff, s61                             // 000000009740: 863D3DFF FFFEFFFF
	v_cndmask_b32_e64 v58, v58, v151, s[60:61]                 // 000000009748: D100003A 00F32F3A
	s_lshl_b32 s60, s60, 1                                     // 000000009750: 8E3C813C
	s_lshl_b32 s61, s61, 1                                     // 000000009754: 8E3D813D
	s_and_b32 s60, 0xfffeffff, s60                             // 000000009758: 863C3CFF FFFEFFFF
	s_and_b32 s61, 0xfffeffff, s61                             // 000000009760: 863D3DFF FFFEFFFF
	v_cndmask_b32_e64 v59, v59, v151, s[60:61]                 // 000000009768: D100003B 00F32F3B
	s_branch label_1671                                        // 000000009770: BF820005

0000000000009774 <label_166C>:
	v_mov_b32_e32 v56, v151                                    // 000000009774: 7E700397
	v_mov_b32_e32 v57, v151                                    // 000000009778: 7E720397
	v_mov_b32_e32 v58, v151                                    // 00000000977C: 7E740397
	v_mov_b32_e32 v59, v151                                    // 000000009780: 7E760397
	s_branch label_1671                                        // 000000009784: BF820000

0000000000009788 <label_1671>:
	s_cmp_lt_i32 s100, 0xc0                                    // 000000009788: BF04FF64 000000C0
	s_cbranch_scc0 label_16C6                                  // 000000009790: BF84004D
	s_cmp_le_i32 s100, 64                                      // 000000009794: BF05C064
	s_cbranch_scc1 label_167D                                  // 000000009798: BF850007
	s_cmp_le_i32 s100, 0x80                                    // 00000000979C: BF05FF64 00000080
	s_cbranch_scc1 label_1695                                  // 0000000097A4: BF850017
	s_cmp_lt_i32 s100, 0xc0                                    // 0000000097A8: BF04FF64 000000C0
	s_cbranch_scc1 label_16AD                                  // 0000000097B0: BF85002C
	s_branch label_16C6                                        // 0000000097B4: BF820044

00000000000097b8 <label_167D>:
	s_mov_b32 s60, 0                                           // 0000000097B8: BEBC0080
	v_and_b32_e32 v28, 15, v0                                  // 0000000097BC: 2638008F
	v_add_u32_e64 v28, v28, s60                                // 0000000097C0: D134001C 0000791C
	v_mul_i32_i24_e64 v29, s46, 16                             // 0000000097C8: D106001D 0001202E
	v_add_u32_e32 v28, v28, v29                                // 0000000097D0: 68383B1C
	v_cmp_lt_u32_e64 s[60:61], v28, s100                       // 0000000097D4: D0C9003C 0000C91C
	s_nop 1                                                    // 0000000097DC: BF800001
	v_cndmask_b32_e64 v48, v151, v48, s[60:61]                 // 0000000097E0: D1000030 00F26197
	v_cndmask_b32_e64 v49, v151, v49, s[60:61]                 // 0000000097E8: D1000031 00F26397
	v_cndmask_b32_e64 v50, v151, v50, s[60:61]                 // 0000000097F0: D1000032 00F26597
	v_cndmask_b32_e64 v51, v151, v51, s[60:61]                 // 0000000097F8: D1000033 00F26797
	s_branch label_16A8                                        // 000000009800: BF820013

0000000000009804 <label_1695>:
	s_mov_b32 s60, 64                                          // 000000009804: BEBC00C0
	v_and_b32_e32 v28, 15, v0                                  // 000000009808: 2638008F
	v_add_u32_e64 v28, v28, s60                                // 00000000980C: D134001C 0000791C
	v_mul_i32_i24_e64 v29, s46, 16                             // 000000009814: D106001D 0001202E
	v_add_u32_e32 v28, v28, v29                                // 00000000981C: 68383B1C
	v_cmp_lt_u32_e64 s[60:61], v28, s100                       // 000000009820: D0C9003C 0000C91C
	s_nop 1                                                    // 000000009828: BF800001
	v_cndmask_b32_e64 v52, v151, v52, s[60:61]                 // 00000000982C: D1000034 00F26997
	v_cndmask_b32_e64 v53, v151, v53, s[60:61]                 // 000000009834: D1000035 00F26B97
	v_cndmask_b32_e64 v54, v151, v54, s[60:61]                 // 00000000983C: D1000036 00F26D97
	v_cndmask_b32_e64 v55, v151, v55, s[60:61]                 // 000000009844: D1000037 00F26F97
	s_branch label_16C1                                        // 00000000984C: BF820019

0000000000009850 <label_16A8>:
	v_mov_b32_e32 v52, v151                                    // 000000009850: 7E680397
	v_mov_b32_e32 v53, v151                                    // 000000009854: 7E6A0397
	v_mov_b32_e32 v54, v151                                    // 000000009858: 7E6C0397
	v_mov_b32_e32 v55, v151                                    // 00000000985C: 7E6E0397
	s_branch label_16C1                                        // 000000009860: BF820014

0000000000009864 <label_16AD>:
	s_mov_b32 s60, 0x80                                        // 000000009864: BEBC00FF 00000080
	v_and_b32_e32 v28, 15, v0                                  // 00000000986C: 2638008F
	v_add_u32_e64 v28, v28, s60                                // 000000009870: D134001C 0000791C
	v_mul_i32_i24_e64 v29, s46, 16                             // 000000009878: D106001D 0001202E
	v_add_u32_e32 v28, v28, v29                                // 000000009880: 68383B1C
	v_cmp_lt_u32_e64 s[60:61], v28, s100                       // 000000009884: D0C9003C 0000C91C
	s_nop 1                                                    // 00000000988C: BF800001
	v_cndmask_b32_e64 v56, v151, v56, s[60:61]                 // 000000009890: D1000038 00F27197
	v_cndmask_b32_e64 v57, v151, v57, s[60:61]                 // 000000009898: D1000039 00F27397
	v_cndmask_b32_e64 v58, v151, v58, s[60:61]                 // 0000000098A0: D100003A 00F27597
	v_cndmask_b32_e64 v59, v151, v59, s[60:61]                 // 0000000098A8: D100003B 00F27797
	s_branch label_16C6                                        // 0000000098B0: BF820005

00000000000098b4 <label_16C1>:
	v_mov_b32_e32 v56, v151                                    // 0000000098B4: 7E700397
	v_mov_b32_e32 v57, v151                                    // 0000000098B8: 7E720397
	v_mov_b32_e32 v58, v151                                    // 0000000098BC: 7E740397
	v_mov_b32_e32 v59, v151                                    // 0000000098C0: 7E760397
	s_branch label_16C6                                        // 0000000098C4: BF820000

00000000000098c8 <label_16C6>:
	s_addk_i32 s74, 0x1                                        // 0000000098C8: B74A0001
	s_waitcnt lgkmcnt(8)                                       // 0000000098CC: BF8CC87F
	s_barrier                                                  // 0000000098D0: BF8A0000
	v_mfma_f32_16x16x16_bf16 v[72:75], v[92:93], a[96:97], 0   // 0000000098D4: D3E10048 1202C15C
	v_fma_f32 v48, v48, s57, -v124                             // 0000000098DC: D1CB0030 85F07330
	v_fma_f32 v49, v49, s57, -v125                             // 0000000098E4: D1CB0031 85F47331
	v_fma_f32 v50, v50, s57, -v126                             // 0000000098EC: D1CB0032 85F87332
	v_mfma_f32_16x16x16_bf16 v[72:75], v[94:95], a[98:99], v[72:75]// 0000000098F4: D3E10048 1522C55E
	ds_read_b128 a[144:147], v12 offset:4352                   // 0000000098FC: DBFE1100 9000000C
	ds_read_b128 a[148:151], v12 offset:4864                   // 000000009904: DBFE1300 9400000C
	v_mfma_f32_16x16x16_bf16 v[72:75], v[96:97], a[100:101], v[72:75]// 00000000990C: D3E10048 1522C960
	v_fma_f32 v51, v51, s57, -v127                             // 000000009914: D1CB0033 85FC7333
	v_fma_f32 v52, v52, s57, -v124                             // 00000000991C: D1CB0034 85F07334
	v_fma_f32 v53, v53, s57, -v125                             // 000000009924: D1CB0035 85F47335
	v_mfma_f32_16x16x16_bf16 v[72:75], v[98:99], a[102:103], v[72:75]// 00000000992C: D3E10048 1522CD62
	v_fma_f32 v54, v54, s57, -v126                             // 000000009934: D1CB0036 85F87336
	v_fma_f32 v55, v55, s57, -v127                             // 00000000993C: D1CB0037 85FC7337
	v_fma_f32 v56, v56, s57, -v124                             // 000000009944: D1CB0038 85F07338
	v_mfma_f32_16x16x16_bf16 v[72:75], v[100:101], a[104:105], v[72:75]// 00000000994C: D3E10048 1522D164
	v_fma_f32 v57, v57, s57, -v125                             // 000000009954: D1CB0039 85F47339
	v_fma_f32 v58, v58, s57, -v126                             // 00000000995C: D1CB003A 85F8733A
	v_fma_f32 v59, v59, s57, -v127                             // 000000009964: D1CB003B 85FC733B
	v_mfma_f32_16x16x16_bf16 v[72:75], v[102:103], a[106:107], v[72:75]// 00000000996C: D3E10048 1522D566
	ds_read_b128 a[152:155], v12 offset:6528                   // 000000009974: DBFE1980 9800000C
	ds_read_b128 a[156:159], v12 offset:7040                   // 00000000997C: DBFE1B80 9C00000C
	v_mfma_f32_16x16x16_bf16 v[72:75], v[104:105], a[108:109], v[72:75]// 000000009984: D3E10048 1522D968
	v_exp_f32_e32 v48, v48                                     // 00000000998C: 7E604130
	v_mfma_f32_16x16x16_bf16 v[72:75], v[106:107], a[110:111], v[72:75]// 000000009990: D3E10048 1522DD6A
	v_exp_f32_e32 v49, v49                                     // 000000009998: 7E624131
	v_mfma_f32_16x16x16_bf16 v[76:79], v[92:93], a[112:113], 0 // 00000000999C: D3E1004C 1202E15C
	v_exp_f32_e32 v50, v50                                     // 0000000099A4: 7E644132
	v_mfma_f32_16x16x16_bf16 v[76:79], v[94:95], a[114:115], v[76:79]// 0000000099A8: D3E1004C 1532E55E
	ds_read_b64 v[136:137], v19 offset:24320                   // 0000000099B0: D8EC5F00 88000013
	ds_read_b64 v[138:139], v19 offset:26368                   // 0000000099B8: D8EC6700 8A000013
	v_mfma_f32_16x16x16_bf16 v[76:79], v[96:97], a[116:117], v[76:79]// 0000000099C0: D3E1004C 1532E960
	v_exp_f32_e32 v51, v51                                     // 0000000099C8: 7E664133
	v_mfma_f32_16x16x16_bf16 v[76:79], v[98:99], a[118:119], v[76:79]// 0000000099CC: D3E1004C 1532ED62
	ds_read_b64 v[140:141], v19 offset:28416                   // 0000000099D4: D8EC6F00 8C000013
	ds_read_b64 v[142:143], v19 offset:30464                   // 0000000099DC: D8EC7700 8E000013
	v_mfma_f32_16x16x16_bf16 v[76:79], v[100:101], a[120:121], v[76:79]// 0000000099E4: D3E1004C 1532F164
	v_exp_f32_e32 v52, v52                                     // 0000000099EC: 7E684134
	v_mfma_f32_16x16x16_bf16 v[76:79], v[102:103], a[122:123], v[76:79]// 0000000099F0: D3E1004C 1532F566
	v_exp_f32_e32 v53, v53                                     // 0000000099F8: 7E6A4135
	v_mfma_f32_16x16x16_bf16 v[76:79], v[104:105], a[124:125], v[76:79]// 0000000099FC: D3E1004C 1532F968
	v_exp_f32_e32 v54, v54                                     // 000000009A04: 7E6C4136
	v_mfma_f32_16x16x16_bf16 v[76:79], v[106:107], a[126:127], v[76:79]// 000000009A08: D3E1004C 1532FD6A
	v_exp_f32_e32 v55, v55                                     // 000000009A10: 7E6E4137
	v_mfma_f32_16x16x16_bf16 v[80:83], v[92:93], a[128:129], 0 // 000000009A14: D3E10050 1203015C
	v_exp_f32_e32 v56, v56                                     // 000000009A1C: 7E704138
	v_mfma_f32_16x16x16_bf16 v[80:83], v[94:95], a[130:131], v[80:83]// 000000009A20: D3E10050 1543055E
	v_exp_f32_e32 v57, v57                                     // 000000009A28: 7E724139
	v_mfma_f32_16x16x16_bf16 v[80:83], v[96:97], a[132:133], v[80:83]// 000000009A2C: D3E10050 15430960
	v_exp_f32_e32 v58, v58                                     // 000000009A34: 7E74413A
	v_mfma_f32_16x16x16_bf16 v[80:83], v[98:99], a[134:135], v[80:83]// 000000009A38: D3E10050 15430D62
	v_exp_f32_e32 v59, v59                                     // 000000009A40: 7E76413B
	v_mfma_f32_16x16x16_bf16 v[80:83], v[100:101], a[136:137], v[80:83]// 000000009A44: D3E10050 15431164
	v_cmp_u_f32_e64 s[78:79], v48, v48                         // 000000009A4C: D048004E 00026130
	v_add3_u32 v248, v48, v251, 1                              // 000000009A54: D1FF00F8 0207F730
	v_cndmask_b32_e64 v28, v248, v250, s[78:79]                // 000000009A5C: D100001C 013BF5F8
	v_cmp_u_f32_e64 s[78:79], v49, v49                         // 000000009A64: D048004E 00026331
	v_add3_u32 v248, v49, v251, 1                              // 000000009A6C: D1FF00F8 0207F731
	v_cndmask_b32_e64 v29, v248, v250, s[78:79]                // 000000009A74: D100001D 013BF5F8
	v_perm_b32 v144, v29, v28, s64                             // 000000009A7C: D1ED0090 0102391D
	v_cmp_u_f32_e64 s[78:79], v50, v50                         // 000000009A84: D048004E 00026532
	v_add3_u32 v248, v50, v251, 1                              // 000000009A8C: D1FF00F8 0207F732
	v_cndmask_b32_e64 v28, v248, v250, s[78:79]                // 000000009A94: D100001C 013BF5F8
	v_cmp_u_f32_e64 s[78:79], v51, v51                         // 000000009A9C: D048004E 00026733
	v_add3_u32 v248, v51, v251, 1                              // 000000009AA4: D1FF00F8 0207F733
	v_cndmask_b32_e64 v29, v248, v250, s[78:79]                // 000000009AAC: D100001D 013BF5F8
	v_perm_b32 v145, v29, v28, s64                             // 000000009AB4: D1ED0091 0102391D
	v_cmp_u_f32_e64 s[78:79], v52, v52                         // 000000009ABC: D048004E 00026934
	v_add3_u32 v248, v52, v251, 1                              // 000000009AC4: D1FF00F8 0207F734
	v_cndmask_b32_e64 v28, v248, v250, s[78:79]                // 000000009ACC: D100001C 013BF5F8
	v_cmp_u_f32_e64 s[78:79], v53, v53                         // 000000009AD4: D048004E 00026B35
	v_add3_u32 v248, v53, v251, 1                              // 000000009ADC: D1FF00F8 0207F735
	v_cndmask_b32_e64 v29, v248, v250, s[78:79]                // 000000009AE4: D100001D 013BF5F8
	v_perm_b32 v146, v29, v28, s64                             // 000000009AEC: D1ED0092 0102391D
	v_mfma_f32_16x16x16_bf16 v[80:83], v[102:103], a[138:139], v[80:83]// 000000009AF4: D3E10050 15431566
	v_cmp_u_f32_e64 s[78:79], v54, v54                         // 000000009AFC: D048004E 00026D36
	v_add3_u32 v248, v54, v251, 1                              // 000000009B04: D1FF00F8 0207F736
	v_cndmask_b32_e64 v28, v248, v250, s[78:79]                // 000000009B0C: D100001C 013BF5F8
	v_cmp_u_f32_e64 s[78:79], v55, v55                         // 000000009B14: D048004E 00026F37
	v_add3_u32 v248, v55, v251, 1                              // 000000009B1C: D1FF00F8 0207F737
	v_cndmask_b32_e64 v29, v248, v250, s[78:79]                // 000000009B24: D100001D 013BF5F8
	v_perm_b32 v147, v29, v28, s64                             // 000000009B2C: D1ED0093 0102391D
	v_cmp_u_f32_e64 s[78:79], v56, v56                         // 000000009B34: D048004E 00027138
	v_add3_u32 v248, v56, v251, 1                              // 000000009B3C: D1FF00F8 0207F738
	v_cndmask_b32_e64 v28, v248, v250, s[78:79]                // 000000009B44: D100001C 013BF5F8
	v_cmp_u_f32_e64 s[78:79], v57, v57                         // 000000009B4C: D048004E 00027339
	v_add3_u32 v248, v57, v251, 1                              // 000000009B54: D1FF00F8 0207F739
	v_cndmask_b32_e64 v29, v248, v250, s[78:79]                // 000000009B5C: D100001D 013BF5F8
	v_perm_b32 v148, v29, v28, s64                             // 000000009B64: D1ED0094 0102391D
	v_cmp_u_f32_e64 s[78:79], v58, v58                         // 000000009B6C: D048004E 0002753A
	v_add3_u32 v248, v58, v251, 1                              // 000000009B74: D1FF00F8 0207F73A
	v_cndmask_b32_e64 v28, v248, v250, s[78:79]                // 000000009B7C: D100001C 013BF5F8
	v_cmp_u_f32_e64 s[78:79], v59, v59                         // 000000009B84: D048004E 0002773B
	v_add3_u32 v248, v59, v251, 1                              // 000000009B8C: D1FF00F8 0207F73B
	v_cndmask_b32_e64 v29, v248, v250, s[78:79]                // 000000009B94: D100001D 013BF5F8
	v_perm_b32 v149, v29, v28, s64                             // 000000009B9C: D1ED0095 0102391D
	v_mfma_f32_16x16x16_bf16 v[80:83], v[104:105], a[140:141], v[80:83]// 000000009BA4: D3E10050 15431968
	v_add_u32_e32 v7, s66, v7                                  // 000000009BAC: 680E0E42
	v_add_u32_e32 v8, s66, v8                                  // 000000009BB0: 68101042
	v_mfma_f32_16x16x16_bf16 v[80:83], v[106:107], a[142:143], v[80:83]// 000000009BB4: D3E10050 15431D6A
	s_waitcnt lgkmcnt(0)                                       // 000000009BBC: BF8CC07F
	s_barrier                                                  // 000000009BC0: BF8A0000
	v_mfma_f32_16x16x16_bf16 v[152:155], v[108:109], v[144:145], v[152:155]// 000000009BC4: D3E10098 0663216C
	v_subrev_f32_dpp v72, v150, v72 quad_perm:[0,0,0,0] row_mask:0xf bank_mask:0xf// 000000009BCC: 069090FA FF000096
	v_subrev_f32_dpp v73, v150, v73 quad_perm:[1,1,1,1] row_mask:0xf bank_mask:0xf// 000000009BD4: 069292FA FF005596
	v_subrev_f32_dpp v74, v150, v74 quad_perm:[2,2,2,2] row_mask:0xf bank_mask:0xf// 000000009BDC: 069494FA FF00AA96
	v_mfma_f32_16x16x16_bf16 v[156:159], v[110:111], v[144:145], v[156:159]// 000000009BE4: D3E1009C 0673216E
	v_subrev_f32_dpp v75, v150, v75 quad_perm:[3,3,3,3] row_mask:0xf bank_mask:0xf// 000000009BEC: 069696FA FF00FF96
	v_subrev_f32_dpp v76, v150, v76 quad_perm:[0,0,0,0] row_mask:0xf bank_mask:0xf// 000000009BF4: 069898FA FF000096
	v_subrev_f32_dpp v77, v150, v77 quad_perm:[1,1,1,1] row_mask:0xf bank_mask:0xf// 000000009BFC: 069A9AFA FF005596
	v_mfma_f32_16x16x16_bf16 v[160:163], v[112:113], v[144:145], v[160:163]// 000000009C04: D3E100A0 06832170
	v_mul_f32_e32 v72, v48, v72                                // 000000009C0C: 0A909130
	v_mul_f32_e32 v73, v49, v73                                // 000000009C10: 0A929331
	v_mul_f32_e32 v74, v50, v74                                // 000000009C14: 0A949532
	v_mfma_f32_16x16x16_bf16 v[164:167], v[114:115], v[144:145], v[164:167]// 000000009C18: D3E100A4 06932172
	v_mul_f32_e32 v75, v51, v75                                // 000000009C20: 0A969733
	v_mul_f32_e32 v76, v52, v76                                // 000000009C24: 0A989934
	v_mul_f32_e32 v77, v53, v77                                // 000000009C28: 0A9A9B35
	v_mfma_f32_16x16x16_bf16 v[168:171], v[116:117], v[144:145], v[168:171]// 000000009C2C: D3E100A8 06A32174
	v_cmp_u_f32_e64 s[78:79], v72, v72                         // 000000009C34: D048004E 00029148
	v_add3_u32 v248, v72, v251, 1                              // 000000009C3C: D1FF00F8 0207F748
	v_cndmask_b32_e64 v28, v248, v250, s[78:79]                // 000000009C44: D100001C 013BF5F8
	v_cmp_u_f32_e64 s[78:79], v73, v73                         // 000000009C4C: D048004E 00029349
	v_add3_u32 v248, v73, v251, 1                              // 000000009C54: D1FF00F8 0207F749
	v_cndmask_b32_e64 v29, v248, v250, s[78:79]                // 000000009C5C: D100001D 013BF5F8
	v_perm_b32 v72, v29, v28, s64                              // 000000009C64: D1ED0048 0102391D
	v_cmp_u_f32_e64 s[78:79], v74, v74                         // 000000009C6C: D048004E 0002954A
	v_add3_u32 v248, v74, v251, 1                              // 000000009C74: D1FF00F8 0207F74A
	v_cndmask_b32_e64 v28, v248, v250, s[78:79]                // 000000009C7C: D100001C 013BF5F8
	v_cmp_u_f32_e64 s[78:79], v75, v75                         // 000000009C84: D048004E 0002974B
	v_add3_u32 v248, v75, v251, 1                              // 000000009C8C: D1FF00F8 0207F74B
	v_cndmask_b32_e64 v29, v248, v250, s[78:79]                // 000000009C94: D100001D 013BF5F8
	v_perm_b32 v73, v29, v28, s64                              // 000000009C9C: D1ED0049 0102391D
	v_cmp_u_f32_e64 s[78:79], v76, v76                         // 000000009CA4: D048004E 0002994C
	v_add3_u32 v248, v76, v251, 1                              // 000000009CAC: D1FF00F8 0207F74C
	v_cndmask_b32_e64 v28, v248, v250, s[78:79]                // 000000009CB4: D100001C 013BF5F8
	v_cmp_u_f32_e64 s[78:79], v77, v77                         // 000000009CBC: D048004E 00029B4D
	v_add3_u32 v248, v77, v251, 1                              // 000000009CC4: D1FF00F8 0207F74D
	v_cndmask_b32_e64 v29, v248, v250, s[78:79]                // 000000009CCC: D100001D 013BF5F8
	v_perm_b32 v74, v29, v28, s64                              // 000000009CD4: D1ED004A 0102391D
	v_mfma_f32_16x16x16_bf16 v[172:175], v[118:119], v[144:145], v[172:175]// 000000009CDC: D3E100AC 06B32176
	v_mov_b32_dpp v16, v72 quad_perm:[1,0,3,2] row_mask:0xf bank_mask:0xf// 000000009CE4: 7E2002FA FF00B148
	v_perm_b32 v48, v16, v72, v15                              // 000000009CEC: D1ED0030 043E9110
	v_mov_b32_dpp v16, v73 quad_perm:[1,0,3,2] row_mask:0xf bank_mask:0xf// 000000009CF4: 7E2002FA FF00B149
	v_mfma_f32_16x16x16_bf16 v[176:179], v[120:121], v[144:145], v[176:179]// 000000009CFC: D3E100B0 06C32178
	ds_write_b32 v18, v48 offset:17408                         // 000000009D04: D81A4400 00003012
	v_mfma_f32_16x16x16_bf16 v[180:183], v[122:123], v[144:145], v[180:183]// 000000009D0C: D3E100B4 06D3217A
	v_perm_b32 v49, v16, v73, v15                              // 000000009D14: D1ED0031 043E9310
	v_mov_b32_dpp v16, v74 quad_perm:[1,0,3,2] row_mask:0xf bank_mask:0xf// 000000009D1C: 7E2002FA FF00B14A
	v_perm_b32 v50, v16, v74, v15                              // 000000009D24: D1ED0032 043E9510
	v_mfma_f32_16x16x16_bf16 v[184:187], v[108:109], v[146:147], v[184:187]// 000000009D2C: D3E100B8 06E3256C
	ds_write_b32 v18, v49 offset:17952                         // 000000009D34: D81A4620 00003112
	v_mfma_f32_16x16x16_bf16 v[188:191], v[110:111], v[146:147], v[188:191]// 000000009D3C: D3E100BC 06F3256E
	v_subrev_f32_dpp v78, v150, v78 quad_perm:[2,2,2,2] row_mask:0xf bank_mask:0xf// 000000009D44: 069C9CFA FF00AA96
	v_subrev_f32_dpp v79, v150, v79 quad_perm:[3,3,3,3] row_mask:0xf bank_mask:0xf// 000000009D4C: 069E9EFA FF00FF96
	v_subrev_f32_dpp v80, v150, v80 quad_perm:[0,0,0,0] row_mask:0xf bank_mask:0xf// 000000009D54: 06A0A0FA FF000096
	v_mfma_f32_16x16x16_bf16 v[192:195], v[112:113], v[146:147], v[192:195]// 000000009D5C: D3E100C0 07032570
	ds_write_b32 v18, v50 offset:19712                         // 000000009D64: D81A4D00 00003212
	v_mfma_f32_16x16x16_bf16 v[196:199], v[114:115], v[146:147], v[196:199]// 000000009D6C: D3E100C4 07132572
	v_subrev_f32_dpp v81, v150, v81 quad_perm:[1,1,1,1] row_mask:0xf bank_mask:0xf// 000000009D74: 06A2A2FA FF005596
	v_subrev_f32_dpp v82, v150, v82 quad_perm:[2,2,2,2] row_mask:0xf bank_mask:0xf// 000000009D7C: 06A4A4FA FF00AA96
	v_subrev_f32_dpp v83, v150, v83 quad_perm:[3,3,3,3] row_mask:0xf bank_mask:0xf// 000000009D84: 06A6A6FA FF00FF96
	v_mfma_f32_16x16x16_bf16 v[200:203], v[116:117], v[146:147], v[200:203]// 000000009D8C: D3E100C8 07232574
	v_mul_f32_e32 v78, v54, v78                                // 000000009D94: 0A9C9D36
	v_mul_f32_e32 v79, v55, v79                                // 000000009D98: 0A9E9F37
	v_mul_f32_e32 v80, v56, v80                                // 000000009D9C: 0AA0A138
	v_mfma_f32_16x16x16_bf16 v[204:207], v[118:119], v[146:147], v[204:207]// 000000009DA0: D3E100CC 07332576
	v_mul_f32_e32 v81, v57, v81                                // 000000009DA8: 0AA2A339
	v_mul_f32_e32 v82, v58, v82                                // 000000009DAC: 0AA4A53A
	v_mul_f32_e32 v83, v59, v83                                // 000000009DB0: 0AA6A73B
	v_mfma_f32_16x16x16_bf16 v[208:211], v[120:121], v[146:147], v[208:211]// 000000009DB4: D3E100D0 07432578
	v_cmp_u_f32_e64 s[78:79], v78, v78                         // 000000009DBC: D048004E 00029D4E
	v_add3_u32 v248, v78, v251, 1                              // 000000009DC4: D1FF00F8 0207F74E
	v_cndmask_b32_e64 v28, v248, v250, s[78:79]                // 000000009DCC: D100001C 013BF5F8
	v_cmp_u_f32_e64 s[78:79], v79, v79                         // 000000009DD4: D048004E 00029F4F
	v_add3_u32 v248, v79, v251, 1                              // 000000009DDC: D1FF00F8 0207F74F
	v_cndmask_b32_e64 v29, v248, v250, s[78:79]                // 000000009DE4: D100001D 013BF5F8
	v_perm_b32 v75, v29, v28, s64                              // 000000009DEC: D1ED004B 0102391D
	v_cmp_u_f32_e64 s[78:79], v80, v80                         // 000000009DF4: D048004E 0002A150
	v_add3_u32 v248, v80, v251, 1                              // 000000009DFC: D1FF00F8 0207F750
	v_cndmask_b32_e64 v28, v248, v250, s[78:79]                // 000000009E04: D100001C 013BF5F8
	v_cmp_u_f32_e64 s[78:79], v81, v81                         // 000000009E0C: D048004E 0002A351
	v_add3_u32 v248, v81, v251, 1                              // 000000009E14: D1FF00F8 0207F751
	v_cndmask_b32_e64 v29, v248, v250, s[78:79]                // 000000009E1C: D100001D 013BF5F8
	v_perm_b32 v76, v29, v28, s64                              // 000000009E24: D1ED004C 0102391D
	v_cmp_u_f32_e64 s[78:79], v82, v82                         // 000000009E2C: D048004E 0002A552
	v_add3_u32 v248, v82, v251, 1                              // 000000009E34: D1FF00F8 0207F752
	v_cndmask_b32_e64 v28, v248, v250, s[78:79]                // 000000009E3C: D100001C 013BF5F8
	v_cmp_u_f32_e64 s[78:79], v83, v83                         // 000000009E44: D048004E 0002A753
	v_add3_u32 v248, v83, v251, 1                              // 000000009E4C: D1FF00F8 0207F753
	v_cndmask_b32_e64 v29, v248, v250, s[78:79]                // 000000009E54: D100001D 013BF5F8
	v_perm_b32 v77, v29, v28, s64                              // 000000009E5C: D1ED004D 0102391D
	v_mfma_f32_16x16x16_bf16 v[212:215], v[122:123], v[146:147], v[212:215]// 000000009E64: D3E100D4 0753257A
	v_mov_b32_dpp v16, v75 quad_perm:[1,0,3,2] row_mask:0xf bank_mask:0xf// 000000009E6C: 7E2002FA FF00B14B
	v_perm_b32 v51, v16, v75, v15                              // 000000009E74: D1ED0033 043E9710
	v_mov_b32_dpp v16, v76 quad_perm:[1,0,3,2] row_mask:0xf bank_mask:0xf// 000000009E7C: 7E2002FA FF00B14C
	v_mfma_f32_16x16x16_bf16 v[216:219], v[108:109], v[148:149], v[216:219]// 000000009E84: D3E100D8 0763296C
	ds_write_b32 v18, v51 offset:20256                         // 000000009E8C: D81A4F20 00003312
	v_mfma_f32_16x16x16_bf16 v[220:223], v[110:111], v[148:149], v[220:223]// 000000009E94: D3E100DC 0773296E
	v_perm_b32 v52, v16, v76, v15                              // 000000009E9C: D1ED0034 043E9910
	v_mov_b32_dpp v16, v77 quad_perm:[1,0,3,2] row_mask:0xf bank_mask:0xf// 000000009EA4: 7E2002FA FF00B14D
	v_perm_b32 v53, v16, v77, v15                              // 000000009EAC: D1ED0035 043E9B10
	v_mfma_f32_16x16x16_bf16 v[224:227], v[112:113], v[148:149], v[224:227]// 000000009EB4: D3E100E0 07832970
	ds_write_b32 v18, v52 offset:22016                         // 000000009EBC: D81A5600 00003412
	ds_write_b32 v18, v53 offset:22560                         // 000000009EC4: D81A5820 00003512
	v_mfma_f32_16x16x16_bf16 v[228:231], v[114:115], v[148:149], v[228:231]// 000000009ECC: D3E100E4 07932972
	v_mfma_f32_16x16x16_bf16 v[232:235], v[116:117], v[148:149], v[232:235]// 000000009ED4: D3E100E8 07A32974
	ds_write_b32 v13, v84 offset:4352                          // 000000009EDC: D81A1100 0000540D
	ds_write_b32 v13, v85 offset:5408                          // 000000009EE4: D81A1520 0000550D
	v_mfma_f32_16x16x16_bf16 v[236:239], v[118:119], v[148:149], v[236:239]// 000000009EEC: D3E100EC 07B32976
	v_mfma_f32_16x16x16_bf16 v[240:243], v[120:121], v[148:149], v[240:243]// 000000009EF4: D3E100F0 07C32978
	ds_write_b32 v13, v86 offset:4480                          // 000000009EFC: D81A1180 0000560D
	ds_write_b32 v13, v87 offset:5536                          // 000000009F04: D81A15A0 0000570D
	v_mfma_f32_16x16x16_bf16 v[244:247], v[122:123], v[148:149], v[244:247]// 000000009F0C: D3E100F4 07D3297A
	s_nop 0                                                    // 000000009F14: BF800000
	s_nop 0                                                    // 000000009F18: BF800000
	s_nop 0                                                    // 000000009F1C: BF800000
	s_barrier                                                  // 000000009F20: BF8A0000
	v_mfma_f32_16x16x16_bf16 a[160:163], a[144:145], v[72:73], a[160:163]// 000000009F24: D3E180A0 0E829190
	ds_read_b32 v124, v21 offset:50688                         // 000000009F2C: D86CC600 7C000015
	ds_read_b32 v150, v21 offset:50944                         // 000000009F34: D86CC700 96000015
	v_mfma_f32_16x16x16_bf16 a[164:167], a[146:147], v[72:73], a[164:167]// 000000009F3C: D3E180A4 0E929192
	buffer_atomic_add_f32 v136, v7, s[32:35], 0 offen          // 000000009F44: E1341000 80088807
	v_mfma_f32_16x16x16_bf16 a[168:171], a[148:149], v[72:73], a[168:171]// 000000009F4C: D3E180A8 0EA29194
	s_waitcnt lgkmcnt(6)                                       // 000000009F54: BF8CC67F
	s_barrier                                                  // 000000009F58: BF8A0000
	v_mfma_f32_16x16x16_bf16 a[172:175], a[150:151], v[72:73], a[172:175]// 000000009F5C: D3E180AC 0EB29196
	v_mfma_f32_16x16x16_bf16 a[176:179], a[152:153], v[72:73], a[176:179]// 000000009F64: D3E180B0 0EC29198
	ds_read_b128 v[48:51], v17 offset:17408                    // 000000009F6C: D9FE4400 30000011
	v_mfma_f32_16x16x16_bf16 a[180:183], a[154:155], v[72:73], a[180:183]// 000000009F74: D3E180B4 0ED2919A
	v_mfma_f32_16x16x16_bf16 a[184:187], a[156:157], v[72:73], a[184:187]// 000000009F7C: D3E180B8 0EE2919C
	ds_read_b128 v[52:55], v17 offset:18560                    // 000000009F84: D9FE4880 34000011
	v_mfma_f32_16x16x16_bf16 a[188:191], a[158:159], v[72:73], a[188:191]// 000000009F8C: D3E180BC 0EF2919E
	buffer_atomic_add_f32 v137, v8, s[32:35], 0 offen          // 000000009F94: E1341000 80088908
	v_mfma_f32_16x16x16_bf16 a[192:195], a[144:145], v[74:75], a[192:195]// 000000009F9C: D3E180C0 0F029590
	ds_read_b128 v[56:59], v17 offset:19712                    // 000000009FA4: D9FE4D00 38000011
	v_mfma_f32_16x16x16_bf16 a[196:199], a[146:147], v[74:75], a[196:199]// 000000009FAC: D3E180C4 0F129592
	v_mfma_f32_16x16x16_bf16 a[200:203], a[148:149], v[74:75], a[200:203]// 000000009FB4: D3E180C8 0F229594
	ds_read_b128 v[60:63], v17 offset:20864                    // 000000009FBC: D9FE5180 3C000011
	v_mfma_f32_16x16x16_bf16 a[204:207], a[150:151], v[74:75], a[204:207]// 000000009FC4: D3E180CC 0F329596
	v_mfma_f32_16x16x16_bf16 a[208:211], a[152:153], v[74:75], a[208:211]// 000000009FCC: D3E180D0 0F429598
	ds_read_b128 v[64:67], v17 offset:22016                    // 000000009FD4: D9FE5600 40000011
	v_mfma_f32_16x16x16_bf16 a[212:215], a[154:155], v[74:75], a[212:215]// 000000009FDC: D3E180D4 0F52959A
	buffer_atomic_add_f32 v138, v7, s[32:35], 0 offen offset:128// 000000009FE4: E1341080 80088A07
	v_mfma_f32_16x16x16_bf16 a[216:219], a[156:157], v[74:75], a[216:219]// 000000009FEC: D3E180D8 0F62959C
	ds_read_b128 v[68:71], v17 offset:23168                    // 000000009FF4: D9FE5A80 44000011
	v_mfma_f32_16x16x16_bf16 a[220:223], a[158:159], v[74:75], a[220:223]// 000000009FFC: D3E180DC 0F72959E
	v_mfma_f32_16x16x16_bf16 a[224:227], a[144:145], v[76:77], a[224:227]// 00000000A004: D3E180E0 0F829990
	ds_write_b32 v13, v88 offset:13056                         // 00000000A00C: D81A3300 0000580D
	v_mfma_f32_16x16x16_bf16 a[228:231], a[146:147], v[76:77], a[228:231]// 00000000A014: D3E180E4 0F929992
	v_mfma_f32_16x16x16_bf16 a[232:235], a[148:149], v[76:77], a[232:235]// 00000000A01C: D3E180E8 0FA29994
	ds_write_b32 v13, v89 offset:14112                         // 00000000A024: D81A3720 0000590D
	v_mfma_f32_16x16x16_bf16 a[236:239], a[150:151], v[76:77], a[236:239]// 00000000A02C: D3E180EC 0FB29996
	buffer_atomic_add_f32 v139, v8, s[32:35], 0 offen offset:128// 00000000A034: E1341080 80088B08
	v_mfma_f32_16x16x16_bf16 a[240:243], a[152:153], v[76:77], a[240:243]// 00000000A03C: D3E180F0 0FC29998
	ds_write_b32 v13, v90 offset:13184                         // 00000000A044: D81A3380 00005A0D
	v_mfma_f32_16x16x16_bf16 a[244:247], a[154:155], v[76:77], a[244:247]// 00000000A04C: D3E180F4 0FD2999A
	v_mfma_f32_16x16x16_bf16 a[248:251], a[156:157], v[76:77], a[248:251]// 00000000A054: D3E180F8 0FE2999C
	ds_write_b32 v13, v91 offset:14240                         // 00000000A05C: D81A37A0 00005B0D
	v_mfma_f32_16x16x16_bf16 a[252:255], a[158:159], v[76:77], a[252:255]// 00000000A064: D3E180FC 0FF2999E
	s_waitcnt vmcnt(8) lgkmcnt(4)                              // 00000000A06C: BF8C0478
	s_barrier                                                  // 00000000A070: BF8A0000
	v_mfma_f32_16x16x16_bf16 v[128:131], v[48:49], a[48:49], 0 // 00000000A074: D3E10080 12026130
	ds_read_b128 a[144:147], v10                               // 00000000A07C: DBFE0000 9000000A
	v_mov_b32_e32 v32, 0                                       // 00000000A084: 7E400280
	s_mov_b64 exec, s[90:91]                                   // 00000000A088: BEFE015A
	buffer_load_dword v32, v1, s[8:11], 0 idxen                // 00000000A08C: E0502000 80022001
	s_mov_b32 exec_lo, -1                                      // 00000000A094: BEFE00C1
	s_mov_b32 exec_hi, -1                                      // 00000000A098: BEFF00C1
	v_mfma_f32_16x16x16_bf16 v[128:131], v[50:51], a[52:53], v[128:131]// 00000000A09C: D3E10080 16026932
	v_mul_f32_e32 v124, s48, v124                              // 00000000A0A4: 0AF8F830
	s_nop 0                                                    // 00000000A0A8: BF800000
	v_mfma_f32_16x16x16_bf16 v[128:131], v[52:53], a[56:57], v[128:131]// 00000000A0AC: D3E10080 16027134
	ds_read_b128 a[148:151], v10 offset:512                    // 00000000A0B4: DBFE0200 9400000A
	v_mov_b32_e32 v33, 0                                       // 00000000A0BC: 7E420280
	s_mov_b64 exec, s[90:91]                                   // 00000000A0C0: BEFE015A
	buffer_load_dword v33, v2, s[8:11], 0 idxen                // 00000000A0C4: E0502000 80022102
	s_mov_b32 exec_lo, -1                                      // 00000000A0CC: BEFE00C1
	s_mov_b32 exec_hi, -1                                      // 00000000A0D0: BEFF00C1
	v_mfma_f32_16x16x16_bf16 v[128:131], v[54:55], a[60:61], v[128:131]// 00000000A0D4: D3E10080 16027936
	v_mfma_f32_16x16x16_bf16 v[128:131], v[56:57], a[64:65], v[128:131]// 00000000A0DC: D3E10080 16028138
	ds_read_b128 a[152:155], v10 offset:2176                   // 00000000A0E4: DBFE0880 9800000A
	v_mov_b32_e32 v34, 0                                       // 00000000A0EC: 7E440280
	s_mov_b64 exec, s[90:91]                                   // 00000000A0F0: BEFE015A
	buffer_load_dword v34, v3, s[8:11], 0 idxen                // 00000000A0F4: E0502000 80022203
	s_mov_b32 exec_lo, -1                                      // 00000000A0FC: BEFE00C1
	s_mov_b32 exec_hi, -1                                      // 00000000A100: BEFF00C1
	v_mfma_f32_16x16x16_bf16 v[128:131], v[58:59], a[68:69], v[128:131]// 00000000A104: D3E10080 1602893A
	v_perm_b32 v84, v37, v36, s63                              // 00000000A10C: D1ED0054 00FE4925
	v_perm_b32 v85, v37, v36, s64                              // 00000000A114: D1ED0055 01024925
	v_mfma_f32_16x16x16_bf16 v[128:131], v[60:61], a[72:73], v[128:131]// 00000000A11C: D3E10080 1602913C
	ds_read_b128 a[156:159], v10 offset:2688                   // 00000000A124: DBFE0A80 9C00000A
	v_mov_b32_e32 v35, 0                                       // 00000000A12C: 7E460280
	s_mov_b64 exec, s[90:91]                                   // 00000000A130: BEFE015A
	buffer_load_dword v35, v4, s[8:11], 0 idxen                // 00000000A134: E0502000 80022304
	s_mov_b32 exec_lo, -1                                      // 00000000A13C: BEFE00C1
	s_mov_b32 exec_hi, -1                                      // 00000000A140: BEFF00C1
	v_mfma_f32_16x16x16_bf16 v[128:131], v[62:63], a[76:77], v[128:131]// 00000000A144: D3E10080 1602993E
	v_perm_b32 v86, v39, v38, s63                              // 00000000A14C: D1ED0056 00FE4D27
	v_perm_b32 v87, v39, v38, s64                              // 00000000A154: D1ED0057 01024D27
	v_mfma_f32_16x16x16_bf16 v[128:131], v[64:65], a[80:81], v[128:131]// 00000000A15C: D3E10080 1602A140
	ds_read_b128 v[92:95], v10 offset:8704                     // 00000000A164: D9FE2200 5C00000A
	v_mov_b32_e32 v40, 0                                       // 00000000A16C: 7E500280
	s_mov_b64 exec, s[90:91]                                   // 00000000A170: BEFE015A
	buffer_load_dword v40, v252, s[20:23], 0 idxen             // 00000000A174: E0502000 800528FC
	s_mov_b32 exec_lo, -1                                      // 00000000A17C: BEFE00C1
	s_mov_b32 exec_hi, -1                                      // 00000000A180: BEFF00C1
	v_mfma_f32_16x16x16_bf16 v[128:131], v[66:67], a[84:85], v[128:131]// 00000000A184: D3E10080 1602A942
	v_perm_b32 v88, v45, v44, s63                              // 00000000A18C: D1ED0058 00FE592D
	v_perm_b32 v89, v45, v44, s64                              // 00000000A194: D1ED0059 0102592D
	v_mfma_f32_16x16x16_bf16 v[128:131], v[68:69], a[88:89], v[128:131]// 00000000A19C: D3E10080 1602B144
	ds_read_b128 v[96:99], v10 offset:9216                     // 00000000A1A4: D9FE2400 6000000A
	v_mov_b32_e32 v41, 0                                       // 00000000A1AC: 7E520280
	s_mov_b64 exec, s[90:91]                                   // 00000000A1B0: BEFE015A
	buffer_load_dword v41, v253, s[20:23], 0 idxen             // 00000000A1B4: E0502000 800529FD
	s_mov_b32 exec_lo, -1                                      // 00000000A1BC: BEFE00C1
	s_mov_b32 exec_hi, -1                                      // 00000000A1C0: BEFF00C1
	v_mfma_f32_16x16x16_bf16 v[128:131], v[70:71], a[92:93], v[128:131]// 00000000A1C4: D3E10080 1602B946
	v_perm_b32 v90, v47, v46, s63                              // 00000000A1CC: D1ED005A 00FE5D2F
	v_perm_b32 v91, v47, v46, s64                              // 00000000A1D4: D1ED005B 01025D2F
	v_mfma_f32_16x16x16_bf16 v[132:135], v[48:49], a[50:51], 0 // 00000000A1DC: D3E10084 12026530
	ds_read_b128 v[100:103], v10 offset:10880                  // 00000000A1E4: D9FE2A80 6400000A
	v_mov_b32_e32 v42, 0                                       // 00000000A1EC: 7E540280
	s_mov_b64 exec, s[90:91]                                   // 00000000A1F0: BEFE015A
	buffer_load_dword v42, v254, s[20:23], 0 idxen             // 00000000A1F4: E0502000 80052AFE
	s_mov_b32 exec_lo, -1                                      // 00000000A1FC: BEFE00C1
	s_mov_b32 exec_hi, -1                                      // 00000000A200: BEFF00C1
	v_mfma_f32_16x16x16_bf16 v[132:135], v[50:51], a[54:55], v[132:135]// 00000000A204: D3E10084 16126D32
	v_mov_b32_dpp v127, v124 quad_perm:[3,3,3,3] row_mask:0xf bank_mask:0xf// 00000000A20C: 7EFE02FA FF00FF7C
	v_mov_b32_dpp v126, v124 quad_perm:[2,2,2,2] row_mask:0xf bank_mask:0xf// 00000000A214: 7EFC02FA FF00AA7C
	v_mfma_f32_16x16x16_bf16 v[132:135], v[52:53], a[58:59], v[132:135]// 00000000A21C: D3E10084 16127534
	ds_read_b128 v[104:107], v10 offset:11392                  // 00000000A224: D9FE2C80 6800000A
	v_mov_b32_e32 v43, 0                                       // 00000000A22C: 7E560280
	s_mov_b64 exec, s[90:91]                                   // 00000000A230: BEFE015A
	buffer_load_dword v43, v255, s[20:23], 0 idxen             // 00000000A234: E0502000 80052BFF
	s_mov_b32 exec_lo, -1                                      // 00000000A23C: BEFE00C1
	s_mov_b32 exec_hi, -1                                      // 00000000A240: BEFF00C1
	v_mfma_f32_16x16x16_bf16 v[132:135], v[54:55], a[62:63], v[132:135]// 00000000A244: D3E10084 16127D36
	v_mov_b32_dpp v125, v124 quad_perm:[1,1,1,1] row_mask:0xf bank_mask:0xf// 00000000A24C: 7EFA02FA FF00557C
	v_mov_b32_dpp v124, v124 quad_perm:[0,0,0,0] row_mask:0xf bank_mask:0xf// 00000000A254: 7EF802FA FF00007C
	s_add_u32 s60, 64, s59                                     // 00000000A25C: 803C3BC0
	v_mfma_f32_16x16x16_bf16 v[132:135], v[56:57], a[66:67], v[132:135]// 00000000A260: D3E10084 16128538
	buffer_load_dword v9, s[24:27], 0 idxen lds                // 00000000A268: E0512000 80060009
	v_mfma_f32_16x16x16_bf16 v[132:135], v[58:59], a[70:71], v[132:135]// 00000000A270: D3E10084 16128D3A
	s_cmp_lt_u32 s60, s58                                      // 00000000A278: BF0A3A3C
	s_cselect_b32 s68, s68, 0                                  // 00000000A27C: 85448044
	s_cselect_b32 s99, s99, 0                                  // 00000000A280: 85638063
	s_cselect_b32 s69, s69, 0                                  // 00000000A284: 85458045
	v_mfma_f32_16x16x16_bf16 v[132:135], v[60:61], a[74:75], v[132:135]// 00000000A288: D3E10084 1612953C
	v_add_u32_e32 v1, s68, v1                                  // 00000000A290: 68020244
	v_add_u32_e32 v2, s68, v2                                  // 00000000A294: 68040444
	v_add_u32_e32 v3, s68, v3                                  // 00000000A298: 68060644
	v_add_u32_e32 v4, s68, v4                                  // 00000000A29C: 68080844
	v_mfma_f32_16x16x16_bf16 v[132:135], v[62:63], a[78:79], v[132:135]// 00000000A2A0: D3E10084 16129D3E
	v_add_u32_e32 v252, s99, v252                              // 00000000A2A8: 69F9F863
	v_add_u32_e32 v253, s99, v253                              // 00000000A2AC: 69FBFA63
	v_add_u32_e32 v254, s99, v254                              // 00000000A2B0: 69FDFC63
	v_add_u32_e32 v255, s99, v255                              // 00000000A2B4: 69FFFE63
	v_mfma_f32_16x16x16_bf16 v[132:135], v[64:65], a[82:83], v[132:135]// 00000000A2B8: D3E10084 1612A540
	s_mov_b32 m0, s81                                          // 00000000A2C0: BEFC0051
	v_add_u32_e32 v9, s69, v9                                  // 00000000A2C4: 68121245
	v_mfma_f32_16x16x16_bf16 v[132:135], v[66:67], a[86:87], v[132:135]// 00000000A2C8: D3E10084 1612AD42
	s_cmp_ge_u32 s59, s73                                      // 00000000A2D0: BF09493B
	s_cselect_b32 s66, s67, s66                                // 00000000A2D4: 85424243
	v_mfma_f32_16x16x16_bf16 v[132:135], v[68:69], a[90:91], v[132:135]// 00000000A2D8: D3E10084 1612B544
	s_addk_i32 s59, 0x10                                       // 00000000A2E0: B73B0010
	s_nop 0                                                    // 00000000A2E4: BF800000
	s_cmp_lt_i32 s59, s58                                      // 00000000A2E8: BF043A3B
	v_mfma_f32_16x16x16_bf16 v[132:135], v[70:71], a[94:95], v[132:135]// 00000000A2EC: D3E10084 1612BD46
	s_cbranch_scc0 label_11DB                                  // 00000000A2F4: BF84F893
	s_branch label_11DE                                        // 00000000A2F8: BF82F895

000000000000a2fc <label_1953>:
	buffer_atomic_add_f32 v140, v7, s[32:35], 0 offen offset:256// 00000000A2FC: E1341100 80088C07
	buffer_atomic_add_f32 v141, v8, s[32:35], 0 offen offset:256// 00000000A304: E1341100 80088D08
	buffer_atomic_add_f32 v142, v7, s[32:35], 0 offen offset:384// 00000000A30C: E1341180 80088E07
	buffer_atomic_add_f32 v143, v8, s[32:35], 0 offen offset:384// 00000000A314: E1341180 80088F08
	v_add_u32_e32 v7, s66, v7                                  // 00000000A31C: 680E0E42
	v_add_u32_e32 v8, s66, v8                                  // 00000000A320: 68101042
	v_lshrrev_b32_e32 v28, 5, v0                               // 00000000A324: 20380085
	v_mul_i32_i24_e32 v25, 0x42, v28                           // 00000000A328: 0C3238FF 00000042
	v_and_b32_e32 v28, 31, v0                                  // 00000000A330: 2638009F
	v_mul_i32_i24_e32 v29, 2, v28                              // 00000000A334: 0C3A3882
	v_add_u32_e32 v25, v29, v25                                // 00000000A338: 6832331D
	s_mul_i32 s60, s46, 0x420                                  // 00000000A33C: 923CFF2E 00000420
	v_add_u32_e32 v25, s60, v25                                // 00000000A344: 6832323C
	v_lshlrev_b32_e32 v25, 2, v25                              // 00000000A348: 24323282
	v_mul_f32_e32 v128, s47, v128                              // 00000000A34C: 0B01002F
	v_mul_f32_e32 v129, s47, v129                              // 00000000A350: 0B03022F
	v_mul_f32_e32 v130, s47, v130                              // 00000000A354: 0B05042F
	v_mul_f32_e32 v131, s47, v131                              // 00000000A358: 0B07062F
	v_mul_f32_e32 v132, s47, v132                              // 00000000A35C: 0B09082F
	v_mul_f32_e32 v133, s47, v133                              // 00000000A360: 0B0B0A2F
	v_mul_f32_e32 v134, s47, v134                              // 00000000A364: 0B0D0C2F
	v_mul_f32_e32 v135, s47, v135                              // 00000000A368: 0B0F0E2F
	ds_write_b64 v20, v[128:129] offset:24320                  // 00000000A36C: D89A5F00 00008014
	ds_write_b64 v20, v[130:131] offset:24832                  // 00000000A374: D89A6100 00008214
	ds_write_b64 v20, v[132:133] offset:25344                  // 00000000A37C: D89A6300 00008414
	ds_write_b64 v20, v[134:135] offset:25856                  // 00000000A384: D89A6500 00008614
	s_waitcnt lgkmcnt(0)                                       // 00000000A38C: BF8CC07F
	s_barrier                                                  // 00000000A390: BF8A0000
	ds_read_b64 v[136:137], v19 offset:24320                   // 00000000A394: D8EC5F00 88000013
	ds_read_b64 v[138:139], v19 offset:26368                   // 00000000A39C: D8EC6700 8A000013
	ds_read_b64 v[140:141], v19 offset:28416                   // 00000000A3A4: D8EC6F00 8C000013
	ds_read_b64 v[142:143], v19 offset:30464                   // 00000000A3AC: D8EC7700 8E000013
	s_waitcnt lgkmcnt(0)                                       // 00000000A3B4: BF8CC07F
	s_barrier                                                  // 00000000A3B8: BF8A0000
	buffer_atomic_add_f32 v136, v7, s[32:35], 0 offen          // 00000000A3BC: E1341000 80088807
	buffer_atomic_add_f32 v137, v8, s[32:35], 0 offen          // 00000000A3C4: E1341000 80088908
	buffer_atomic_add_f32 v138, v7, s[32:35], 0 offen offset:128// 00000000A3CC: E1341080 80088A07
	buffer_atomic_add_f32 v139, v8, s[32:35], 0 offen offset:128// 00000000A3D4: E1341080 80088B08
	buffer_atomic_add_f32 v140, v7, s[32:35], 0 offen offset:256// 00000000A3DC: E1341100 80088C07
	buffer_atomic_add_f32 v141, v8, s[32:35], 0 offen offset:256// 00000000A3E4: E1341100 80088D08
	buffer_atomic_add_f32 v142, v7, s[32:35], 0 offen offset:384// 00000000A3EC: E1341180 80088E07
	buffer_atomic_add_f32 v143, v8, s[32:35], 0 offen offset:384// 00000000A3F4: E1341180 80088F08
	v_lshrrev_b32_e32 v28, 4, v0                               // 00000000A3FC: 20380084
	v_mul_i32_i24_e32 v24, 2, v28                              // 00000000A400: 0C303882
	v_and_b32_e32 v28, 15, v0                                  // 00000000A404: 2638008F
	v_mul_i32_i24_e32 v29, 0x42, v28                           // 00000000A408: 0C3A38FF 00000042
	v_add_u32_e32 v24, v29, v24                                // 00000000A410: 6830311D
	s_mul_i32 s60, s46, 0x420                                  // 00000000A414: 923CFF2E 00000420
	v_add_u32_e32 v24, s60, v24                                // 00000000A41C: 6830303C
	v_lshlrev_b32_e32 v24, 2, v24                              // 00000000A420: 24303082
	v_and_b32_e32 v28, 15, v0                                  // 00000000A424: 2638008F
	v_mov_b32_e32 v29, s98                                     // 00000000A428: 7E3A0262
	v_lshrrev_b32_e32 v29, 3, v29                              // 00000000A42C: 203A3A83
	v_cmp_lt_u32_e64 s[92:93], v28, v29                        // 00000000A430: D0C9005C 00023B1C
	v_accvgpr_read_b32 v30, a160                               // 00000000A438: D3D8401E 180001A0
	v_accvgpr_read_b32 v31, a161                               // 00000000A440: D3D8401F 180001A1
	v_mul_f32_e32 v30, s47, v30                                // 00000000A448: 0A3C3C2F
	v_mul_f32_e32 v31, s47, v31                                // 00000000A44C: 0A3E3E2F
	v_cmp_u_f32_e64 s[78:79], v30, v30                         // 00000000A450: D048004E 00023D1E
	v_bfe_u32 v248, v30, 16, 1                                 // 00000000A458: D1C800F8 0205211E
	v_add3_u32 v248, v30, v248, v251                           // 00000000A460: D1FF00F8 07EFF11E
	v_cndmask_b32_e64 v28, v248, v250, s[78:79]                // 00000000A468: D100001C 013BF5F8
	v_lshrrev_b32_e32 v28, 16, v28                             // 00000000A470: 20383890
	v_cmp_u_f32_e64 s[78:79], v31, v31                         // 00000000A474: D048004E 00023F1F
	v_bfe_u32 v248, v31, 16, 1                                 // 00000000A47C: D1C800F8 0205211F
	v_add3_u32 v248, v31, v248, v251                           // 00000000A484: D1FF00F8 07EFF11F
	v_cndmask_b32_e64 v29, v248, v250, s[78:79]                // 00000000A48C: D100001D 013BF5F8
	v_and_or_b32 v48, v29, v249, v28                           // 00000000A494: D2010030 0473F31D
	v_accvgpr_read_b32 v30, a162                               // 00000000A49C: D3D8401E 180001A2
	v_accvgpr_read_b32 v31, a163                               // 00000000A4A4: D3D8401F 180001A3
	v_mul_f32_e32 v30, s47, v30                                // 00000000A4AC: 0A3C3C2F
	v_mul_f32_e32 v31, s47, v31                                // 00000000A4B0: 0A3E3E2F
	v_cmp_u_f32_e64 s[78:79], v30, v30                         // 00000000A4B4: D048004E 00023D1E
	v_bfe_u32 v248, v30, 16, 1                                 // 00000000A4BC: D1C800F8 0205211E
	v_add3_u32 v248, v30, v248, v251                           // 00000000A4C4: D1FF00F8 07EFF11E
	v_cndmask_b32_e64 v28, v248, v250, s[78:79]                // 00000000A4CC: D100001C 013BF5F8
	v_lshrrev_b32_e32 v28, 16, v28                             // 00000000A4D4: 20383890
	v_cmp_u_f32_e64 s[78:79], v31, v31                         // 00000000A4D8: D048004E 00023F1F
	v_bfe_u32 v248, v31, 16, 1                                 // 00000000A4E0: D1C800F8 0205211F
	v_add3_u32 v248, v31, v248, v251                           // 00000000A4E8: D1FF00F8 07EFF11F
	v_cndmask_b32_e64 v29, v248, v250, s[78:79]                // 00000000A4F0: D100001D 013BF5F8
	v_and_or_b32 v49, v29, v249, v28                           // 00000000A4F8: D2010031 0473F31D
	v_accvgpr_read_b32 v30, a164                               // 00000000A500: D3D8401E 180001A4
	v_accvgpr_read_b32 v31, a165                               // 00000000A508: D3D8401F 180001A5
	v_mul_f32_e32 v30, s47, v30                                // 00000000A510: 0A3C3C2F
	v_mul_f32_e32 v31, s47, v31                                // 00000000A514: 0A3E3E2F
	v_cmp_u_f32_e64 s[78:79], v30, v30                         // 00000000A518: D048004E 00023D1E
	v_bfe_u32 v248, v30, 16, 1                                 // 00000000A520: D1C800F8 0205211E
	v_add3_u32 v248, v30, v248, v251                           // 00000000A528: D1FF00F8 07EFF11E
	v_cndmask_b32_e64 v28, v248, v250, s[78:79]                // 00000000A530: D100001C 013BF5F8
	v_lshrrev_b32_e32 v28, 16, v28                             // 00000000A538: 20383890
	v_cmp_u_f32_e64 s[78:79], v31, v31                         // 00000000A53C: D048004E 00023F1F
	v_bfe_u32 v248, v31, 16, 1                                 // 00000000A544: D1C800F8 0205211F
	v_add3_u32 v248, v31, v248, v251                           // 00000000A54C: D1FF00F8 07EFF11F
	v_cndmask_b32_e64 v29, v248, v250, s[78:79]                // 00000000A554: D100001D 013BF5F8
	v_and_or_b32 v50, v29, v249, v28                           // 00000000A55C: D2010032 0473F31D
	v_accvgpr_read_b32 v30, a166                               // 00000000A564: D3D8401E 180001A6
	v_accvgpr_read_b32 v31, a167                               // 00000000A56C: D3D8401F 180001A7
	v_mul_f32_e32 v30, s47, v30                                // 00000000A574: 0A3C3C2F
	v_mul_f32_e32 v31, s47, v31                                // 00000000A578: 0A3E3E2F
	v_cmp_u_f32_e64 s[78:79], v30, v30                         // 00000000A57C: D048004E 00023D1E
	v_bfe_u32 v248, v30, 16, 1                                 // 00000000A584: D1C800F8 0205211E
	v_add3_u32 v248, v30, v248, v251                           // 00000000A58C: D1FF00F8 07EFF11E
	v_cndmask_b32_e64 v28, v248, v250, s[78:79]                // 00000000A594: D100001C 013BF5F8
	v_lshrrev_b32_e32 v28, 16, v28                             // 00000000A59C: 20383890
	v_cmp_u_f32_e64 s[78:79], v31, v31                         // 00000000A5A0: D048004E 00023F1F
	v_bfe_u32 v248, v31, 16, 1                                 // 00000000A5A8: D1C800F8 0205211F
	v_add3_u32 v248, v31, v248, v251                           // 00000000A5B0: D1FF00F8 07EFF11F
	v_cndmask_b32_e64 v29, v248, v250, s[78:79]                // 00000000A5B8: D100001D 013BF5F8
	v_and_or_b32 v51, v29, v249, v28                           // 00000000A5C0: D2010033 0473F31D
	v_accvgpr_read_b32 v30, a168                               // 00000000A5C8: D3D8401E 180001A8
	v_accvgpr_read_b32 v31, a169                               // 00000000A5D0: D3D8401F 180001A9
	v_mul_f32_e32 v30, s47, v30                                // 00000000A5D8: 0A3C3C2F
	v_mul_f32_e32 v31, s47, v31                                // 00000000A5DC: 0A3E3E2F
	v_cmp_u_f32_e64 s[78:79], v30, v30                         // 00000000A5E0: D048004E 00023D1E
	v_bfe_u32 v248, v30, 16, 1                                 // 00000000A5E8: D1C800F8 0205211E
	v_add3_u32 v248, v30, v248, v251                           // 00000000A5F0: D1FF00F8 07EFF11E
	v_cndmask_b32_e64 v28, v248, v250, s[78:79]                // 00000000A5F8: D100001C 013BF5F8
	v_lshrrev_b32_e32 v28, 16, v28                             // 00000000A600: 20383890
	v_cmp_u_f32_e64 s[78:79], v31, v31                         // 00000000A604: D048004E 00023F1F
	v_bfe_u32 v248, v31, 16, 1                                 // 00000000A60C: D1C800F8 0205211F
	v_add3_u32 v248, v31, v248, v251                           // 00000000A614: D1FF00F8 07EFF11F
	v_cndmask_b32_e64 v29, v248, v250, s[78:79]                // 00000000A61C: D100001D 013BF5F8
	v_and_or_b32 v52, v29, v249, v28                           // 00000000A624: D2010034 0473F31D
	v_accvgpr_read_b32 v30, a170                               // 00000000A62C: D3D8401E 180001AA
	v_accvgpr_read_b32 v31, a171                               // 00000000A634: D3D8401F 180001AB
	v_mul_f32_e32 v30, s47, v30                                // 00000000A63C: 0A3C3C2F
	v_mul_f32_e32 v31, s47, v31                                // 00000000A640: 0A3E3E2F
	v_cmp_u_f32_e64 s[78:79], v30, v30                         // 00000000A644: D048004E 00023D1E
	v_bfe_u32 v248, v30, 16, 1                                 // 00000000A64C: D1C800F8 0205211E
	v_add3_u32 v248, v30, v248, v251                           // 00000000A654: D1FF00F8 07EFF11E
	v_cndmask_b32_e64 v28, v248, v250, s[78:79]                // 00000000A65C: D100001C 013BF5F8
	v_lshrrev_b32_e32 v28, 16, v28                             // 00000000A664: 20383890
	v_cmp_u_f32_e64 s[78:79], v31, v31                         // 00000000A668: D048004E 00023F1F
	v_bfe_u32 v248, v31, 16, 1                                 // 00000000A670: D1C800F8 0205211F
	v_add3_u32 v248, v31, v248, v251                           // 00000000A678: D1FF00F8 07EFF11F
	v_cndmask_b32_e64 v29, v248, v250, s[78:79]                // 00000000A680: D100001D 013BF5F8
	v_and_or_b32 v53, v29, v249, v28                           // 00000000A688: D2010035 0473F31D
	v_accvgpr_read_b32 v30, a172                               // 00000000A690: D3D8401E 180001AC
	v_accvgpr_read_b32 v31, a173                               // 00000000A698: D3D8401F 180001AD
	v_mul_f32_e32 v30, s47, v30                                // 00000000A6A0: 0A3C3C2F
	v_mul_f32_e32 v31, s47, v31                                // 00000000A6A4: 0A3E3E2F
	v_cmp_u_f32_e64 s[78:79], v30, v30                         // 00000000A6A8: D048004E 00023D1E
	v_bfe_u32 v248, v30, 16, 1                                 // 00000000A6B0: D1C800F8 0205211E
	v_add3_u32 v248, v30, v248, v251                           // 00000000A6B8: D1FF00F8 07EFF11E
	v_cndmask_b32_e64 v28, v248, v250, s[78:79]                // 00000000A6C0: D100001C 013BF5F8
	v_lshrrev_b32_e32 v28, 16, v28                             // 00000000A6C8: 20383890
	v_cmp_u_f32_e64 s[78:79], v31, v31                         // 00000000A6CC: D048004E 00023F1F
	v_bfe_u32 v248, v31, 16, 1                                 // 00000000A6D4: D1C800F8 0205211F
	v_add3_u32 v248, v31, v248, v251                           // 00000000A6DC: D1FF00F8 07EFF11F
	v_cndmask_b32_e64 v29, v248, v250, s[78:79]                // 00000000A6E4: D100001D 013BF5F8
	v_and_or_b32 v54, v29, v249, v28                           // 00000000A6EC: D2010036 0473F31D
	v_accvgpr_read_b32 v30, a174                               // 00000000A6F4: D3D8401E 180001AE
	v_accvgpr_read_b32 v31, a175                               // 00000000A6FC: D3D8401F 180001AF
	v_mul_f32_e32 v30, s47, v30                                // 00000000A704: 0A3C3C2F
	v_mul_f32_e32 v31, s47, v31                                // 00000000A708: 0A3E3E2F
	v_cmp_u_f32_e64 s[78:79], v30, v30                         // 00000000A70C: D048004E 00023D1E
	v_bfe_u32 v248, v30, 16, 1                                 // 00000000A714: D1C800F8 0205211E
	v_add3_u32 v248, v30, v248, v251                           // 00000000A71C: D1FF00F8 07EFF11E
	v_cndmask_b32_e64 v28, v248, v250, s[78:79]                // 00000000A724: D100001C 013BF5F8
	v_lshrrev_b32_e32 v28, 16, v28                             // 00000000A72C: 20383890
	v_cmp_u_f32_e64 s[78:79], v31, v31                         // 00000000A730: D048004E 00023F1F
	v_bfe_u32 v248, v31, 16, 1                                 // 00000000A738: D1C800F8 0205211F
	v_add3_u32 v248, v31, v248, v251                           // 00000000A740: D1FF00F8 07EFF11F
	v_cndmask_b32_e64 v29, v248, v250, s[78:79]                // 00000000A748: D100001D 013BF5F8
	v_and_or_b32 v55, v29, v249, v28                           // 00000000A750: D2010037 0473F31D
	v_accvgpr_read_b32 v30, a176                               // 00000000A758: D3D8401E 180001B0
	v_accvgpr_read_b32 v31, a177                               // 00000000A760: D3D8401F 180001B1
	v_mul_f32_e32 v30, s47, v30                                // 00000000A768: 0A3C3C2F
	v_mul_f32_e32 v31, s47, v31                                // 00000000A76C: 0A3E3E2F
	v_cmp_u_f32_e64 s[78:79], v30, v30                         // 00000000A770: D048004E 00023D1E
	v_bfe_u32 v248, v30, 16, 1                                 // 00000000A778: D1C800F8 0205211E
	v_add3_u32 v248, v30, v248, v251                           // 00000000A780: D1FF00F8 07EFF11E
	v_cndmask_b32_e64 v28, v248, v250, s[78:79]                // 00000000A788: D100001C 013BF5F8
	v_lshrrev_b32_e32 v28, 16, v28                             // 00000000A790: 20383890
	v_cmp_u_f32_e64 s[78:79], v31, v31                         // 00000000A794: D048004E 00023F1F
	v_bfe_u32 v248, v31, 16, 1                                 // 00000000A79C: D1C800F8 0205211F
	v_add3_u32 v248, v31, v248, v251                           // 00000000A7A4: D1FF00F8 07EFF11F
	v_cndmask_b32_e64 v29, v248, v250, s[78:79]                // 00000000A7AC: D100001D 013BF5F8
	v_and_or_b32 v56, v29, v249, v28                           // 00000000A7B4: D2010038 0473F31D
	v_accvgpr_read_b32 v30, a178                               // 00000000A7BC: D3D8401E 180001B2
	v_accvgpr_read_b32 v31, a179                               // 00000000A7C4: D3D8401F 180001B3
	v_mul_f32_e32 v30, s47, v30                                // 00000000A7CC: 0A3C3C2F
	v_mul_f32_e32 v31, s47, v31                                // 00000000A7D0: 0A3E3E2F
	v_cmp_u_f32_e64 s[78:79], v30, v30                         // 00000000A7D4: D048004E 00023D1E
	v_bfe_u32 v248, v30, 16, 1                                 // 00000000A7DC: D1C800F8 0205211E
	v_add3_u32 v248, v30, v248, v251                           // 00000000A7E4: D1FF00F8 07EFF11E
	v_cndmask_b32_e64 v28, v248, v250, s[78:79]                // 00000000A7EC: D100001C 013BF5F8
	v_lshrrev_b32_e32 v28, 16, v28                             // 00000000A7F4: 20383890
	v_cmp_u_f32_e64 s[78:79], v31, v31                         // 00000000A7F8: D048004E 00023F1F
	v_bfe_u32 v248, v31, 16, 1                                 // 00000000A800: D1C800F8 0205211F
	v_add3_u32 v248, v31, v248, v251                           // 00000000A808: D1FF00F8 07EFF11F
	v_cndmask_b32_e64 v29, v248, v250, s[78:79]                // 00000000A810: D100001D 013BF5F8
	v_and_or_b32 v57, v29, v249, v28                           // 00000000A818: D2010039 0473F31D
	v_accvgpr_read_b32 v30, a180                               // 00000000A820: D3D8401E 180001B4
	v_accvgpr_read_b32 v31, a181                               // 00000000A828: D3D8401F 180001B5
	v_mul_f32_e32 v30, s47, v30                                // 00000000A830: 0A3C3C2F
	v_mul_f32_e32 v31, s47, v31                                // 00000000A834: 0A3E3E2F
	v_cmp_u_f32_e64 s[78:79], v30, v30                         // 00000000A838: D048004E 00023D1E
	v_bfe_u32 v248, v30, 16, 1                                 // 00000000A840: D1C800F8 0205211E
	v_add3_u32 v248, v30, v248, v251                           // 00000000A848: D1FF00F8 07EFF11E
	v_cndmask_b32_e64 v28, v248, v250, s[78:79]                // 00000000A850: D100001C 013BF5F8
	v_lshrrev_b32_e32 v28, 16, v28                             // 00000000A858: 20383890
	v_cmp_u_f32_e64 s[78:79], v31, v31                         // 00000000A85C: D048004E 00023F1F
	v_bfe_u32 v248, v31, 16, 1                                 // 00000000A864: D1C800F8 0205211F
	v_add3_u32 v248, v31, v248, v251                           // 00000000A86C: D1FF00F8 07EFF11F
	v_cndmask_b32_e64 v29, v248, v250, s[78:79]                // 00000000A874: D100001D 013BF5F8
	v_and_or_b32 v58, v29, v249, v28                           // 00000000A87C: D201003A 0473F31D
	v_accvgpr_read_b32 v30, a182                               // 00000000A884: D3D8401E 180001B6
	v_accvgpr_read_b32 v31, a183                               // 00000000A88C: D3D8401F 180001B7
	v_mul_f32_e32 v30, s47, v30                                // 00000000A894: 0A3C3C2F
	v_mul_f32_e32 v31, s47, v31                                // 00000000A898: 0A3E3E2F
	v_cmp_u_f32_e64 s[78:79], v30, v30                         // 00000000A89C: D048004E 00023D1E
	v_bfe_u32 v248, v30, 16, 1                                 // 00000000A8A4: D1C800F8 0205211E
	v_add3_u32 v248, v30, v248, v251                           // 00000000A8AC: D1FF00F8 07EFF11E
	v_cndmask_b32_e64 v28, v248, v250, s[78:79]                // 00000000A8B4: D100001C 013BF5F8
	v_lshrrev_b32_e32 v28, 16, v28                             // 00000000A8BC: 20383890
	v_cmp_u_f32_e64 s[78:79], v31, v31                         // 00000000A8C0: D048004E 00023F1F
	v_bfe_u32 v248, v31, 16, 1                                 // 00000000A8C8: D1C800F8 0205211F
	v_add3_u32 v248, v31, v248, v251                           // 00000000A8D0: D1FF00F8 07EFF11F
	v_cndmask_b32_e64 v29, v248, v250, s[78:79]                // 00000000A8D8: D100001D 013BF5F8
	v_and_or_b32 v59, v29, v249, v28                           // 00000000A8E0: D201003B 0473F31D
	v_accvgpr_read_b32 v30, a184                               // 00000000A8E8: D3D8401E 180001B8
	v_accvgpr_read_b32 v31, a185                               // 00000000A8F0: D3D8401F 180001B9
	v_mul_f32_e32 v30, s47, v30                                // 00000000A8F8: 0A3C3C2F
	v_mul_f32_e32 v31, s47, v31                                // 00000000A8FC: 0A3E3E2F
	v_cmp_u_f32_e64 s[78:79], v30, v30                         // 00000000A900: D048004E 00023D1E
	v_bfe_u32 v248, v30, 16, 1                                 // 00000000A908: D1C800F8 0205211E
	v_add3_u32 v248, v30, v248, v251                           // 00000000A910: D1FF00F8 07EFF11E
	v_cndmask_b32_e64 v28, v248, v250, s[78:79]                // 00000000A918: D100001C 013BF5F8
	v_lshrrev_b32_e32 v28, 16, v28                             // 00000000A920: 20383890
	v_cmp_u_f32_e64 s[78:79], v31, v31                         // 00000000A924: D048004E 00023F1F
	v_bfe_u32 v248, v31, 16, 1                                 // 00000000A92C: D1C800F8 0205211F
	v_add3_u32 v248, v31, v248, v251                           // 00000000A934: D1FF00F8 07EFF11F
	v_cndmask_b32_e64 v29, v248, v250, s[78:79]                // 00000000A93C: D100001D 013BF5F8
	v_and_or_b32 v60, v29, v249, v28                           // 00000000A944: D201003C 0473F31D
	v_accvgpr_read_b32 v30, a186                               // 00000000A94C: D3D8401E 180001BA
	v_accvgpr_read_b32 v31, a187                               // 00000000A954: D3D8401F 180001BB
	v_mul_f32_e32 v30, s47, v30                                // 00000000A95C: 0A3C3C2F
	v_mul_f32_e32 v31, s47, v31                                // 00000000A960: 0A3E3E2F
	v_cmp_u_f32_e64 s[78:79], v30, v30                         // 00000000A964: D048004E 00023D1E
	v_bfe_u32 v248, v30, 16, 1                                 // 00000000A96C: D1C800F8 0205211E
	v_add3_u32 v248, v30, v248, v251                           // 00000000A974: D1FF00F8 07EFF11E
	v_cndmask_b32_e64 v28, v248, v250, s[78:79]                // 00000000A97C: D100001C 013BF5F8
	v_lshrrev_b32_e32 v28, 16, v28                             // 00000000A984: 20383890
	v_cmp_u_f32_e64 s[78:79], v31, v31                         // 00000000A988: D048004E 00023F1F
	v_bfe_u32 v248, v31, 16, 1                                 // 00000000A990: D1C800F8 0205211F
	v_add3_u32 v248, v31, v248, v251                           // 00000000A998: D1FF00F8 07EFF11F
	v_cndmask_b32_e64 v29, v248, v250, s[78:79]                // 00000000A9A0: D100001D 013BF5F8
	v_and_or_b32 v61, v29, v249, v28                           // 00000000A9A8: D201003D 0473F31D
	v_accvgpr_read_b32 v30, a188                               // 00000000A9B0: D3D8401E 180001BC
	v_accvgpr_read_b32 v31, a189                               // 00000000A9B8: D3D8401F 180001BD
	v_mul_f32_e32 v30, s47, v30                                // 00000000A9C0: 0A3C3C2F
	v_mul_f32_e32 v31, s47, v31                                // 00000000A9C4: 0A3E3E2F
	v_cmp_u_f32_e64 s[78:79], v30, v30                         // 00000000A9C8: D048004E 00023D1E
	v_bfe_u32 v248, v30, 16, 1                                 // 00000000A9D0: D1C800F8 0205211E
	v_add3_u32 v248, v30, v248, v251                           // 00000000A9D8: D1FF00F8 07EFF11E
	v_cndmask_b32_e64 v28, v248, v250, s[78:79]                // 00000000A9E0: D100001C 013BF5F8
	v_lshrrev_b32_e32 v28, 16, v28                             // 00000000A9E8: 20383890
	v_cmp_u_f32_e64 s[78:79], v31, v31                         // 00000000A9EC: D048004E 00023F1F
	v_bfe_u32 v248, v31, 16, 1                                 // 00000000A9F4: D1C800F8 0205211F
	v_add3_u32 v248, v31, v248, v251                           // 00000000A9FC: D1FF00F8 07EFF11F
	v_cndmask_b32_e64 v29, v248, v250, s[78:79]                // 00000000AA04: D100001D 013BF5F8
	v_and_or_b32 v62, v29, v249, v28                           // 00000000AA0C: D201003E 0473F31D
	v_accvgpr_read_b32 v30, a190                               // 00000000AA14: D3D8401E 180001BE
	v_accvgpr_read_b32 v31, a191                               // 00000000AA1C: D3D8401F 180001BF
	v_mul_f32_e32 v30, s47, v30                                // 00000000AA24: 0A3C3C2F
	v_mul_f32_e32 v31, s47, v31                                // 00000000AA28: 0A3E3E2F
	v_cmp_u_f32_e64 s[78:79], v30, v30                         // 00000000AA2C: D048004E 00023D1E
	v_bfe_u32 v248, v30, 16, 1                                 // 00000000AA34: D1C800F8 0205211E
	v_add3_u32 v248, v30, v248, v251                           // 00000000AA3C: D1FF00F8 07EFF11E
	v_cndmask_b32_e64 v28, v248, v250, s[78:79]                // 00000000AA44: D100001C 013BF5F8
	v_lshrrev_b32_e32 v28, 16, v28                             // 00000000AA4C: 20383890
	v_cmp_u_f32_e64 s[78:79], v31, v31                         // 00000000AA50: D048004E 00023F1F
	v_bfe_u32 v248, v31, 16, 1                                 // 00000000AA58: D1C800F8 0205211F
	v_add3_u32 v248, v31, v248, v251                           // 00000000AA60: D1FF00F8 07EFF11F
	v_cndmask_b32_e64 v29, v248, v250, s[78:79]                // 00000000AA68: D100001D 013BF5F8
	v_and_or_b32 v63, v29, v249, v28                           // 00000000AA70: D201003F 0473F31D
	ds_write_b64 v25, v[48:49]                                 // 00000000AA78: D89A0000 00003019
	ds_write_b64 v25, v[50:51] offset:528                      // 00000000AA80: D89A0210 00003219
	ds_write_b64 v25, v[52:53] offset:1056                     // 00000000AA88: D89A0420 00003419
	ds_write_b64 v25, v[54:55] offset:1584                     // 00000000AA90: D89A0630 00003619
	ds_write_b64 v25, v[56:57] offset:2112                     // 00000000AA98: D89A0840 00003819
	ds_write_b64 v25, v[58:59] offset:2640                     // 00000000AAA0: D89A0A50 00003A19
	ds_write_b64 v25, v[60:61] offset:3168                     // 00000000AAA8: D89A0C60 00003C19
	ds_write_b64 v25, v[62:63] offset:3696                     // 00000000AAB0: D89A0E70 00003E19
	s_waitcnt lgkmcnt(0)                                       // 00000000AAB8: BF8CC07F
	s_barrier                                                  // 00000000AABC: BF8A0000
	ds_read_b64 v[48:49], v24                                  // 00000000AAC0: D8EC0000 30000018
	ds_read_b64 v[50:51], v24 offset:128                       // 00000000AAC8: D8EC0080 32000018
	ds_read_b64 v[52:53], v24 offset:32                        // 00000000AAD0: D8EC0020 34000018
	ds_read_b64 v[54:55], v24 offset:160                       // 00000000AAD8: D8EC00A0 36000018
	ds_read_b64 v[56:57], v24 offset:64                        // 00000000AAE0: D8EC0040 38000018
	ds_read_b64 v[58:59], v24 offset:192                       // 00000000AAE8: D8EC00C0 3A000018
	ds_read_b64 v[60:61], v24 offset:96                        // 00000000AAF0: D8EC0060 3C000018
	ds_read_b64 v[62:63], v24 offset:224                       // 00000000AAF8: D8EC00E0 3E000018
	s_waitcnt lgkmcnt(0)                                       // 00000000AB00: BF8CC07F
	s_mov_b32 s70, s52                                         // 00000000AB04: BEC60034
	s_mov_b64 exec, s[92:93]                                   // 00000000AB08: BEFE015C
	buffer_store_dwordx4 v[48:51], v5, s[36:39], 0 idxen       // 00000000AB0C: E07C2000 80093005
	s_mov_b32 exec_lo, -1                                      // 00000000AB14: BEFE00C1
	s_mov_b32 exec_hi, -1                                      // 00000000AB18: BEFF00C1
	v_add_u32_e32 v5, s70, v5                                  // 00000000AB1C: 680A0A46
	s_mov_b64 exec, s[92:93]                                   // 00000000AB20: BEFE015C
	buffer_store_dwordx4 v[52:55], v5, s[36:39], 0 idxen       // 00000000AB24: E07C2000 80093405
	s_mov_b32 exec_lo, -1                                      // 00000000AB2C: BEFE00C1
	s_mov_b32 exec_hi, -1                                      // 00000000AB30: BEFF00C1
	v_add_u32_e32 v5, s70, v5                                  // 00000000AB34: 680A0A46
	s_mov_b64 exec, s[92:93]                                   // 00000000AB38: BEFE015C
	buffer_store_dwordx4 v[56:59], v5, s[36:39], 0 idxen       // 00000000AB3C: E07C2000 80093805
	s_mov_b32 exec_lo, -1                                      // 00000000AB44: BEFE00C1
	s_mov_b32 exec_hi, -1                                      // 00000000AB48: BEFF00C1
	v_add_u32_e32 v5, s70, v5                                  // 00000000AB4C: 680A0A46
	s_mov_b64 exec, s[92:93]                                   // 00000000AB50: BEFE015C
	buffer_store_dwordx4 v[60:63], v5, s[36:39], 0 idxen       // 00000000AB54: E07C2000 80093C05
	s_mov_b32 exec_lo, -1                                      // 00000000AB5C: BEFE00C1
	s_mov_b32 exec_hi, -1                                      // 00000000AB60: BEFF00C1
	v_add_u32_e32 v5, s70, v5                                  // 00000000AB64: 680A0A46
	s_mul_i32 s60, 12, s70                                     // 00000000AB68: 923C468C
	v_add_u32_e32 v5, s60, v5                                  // 00000000AB6C: 680A0A3C
	s_barrier                                                  // 00000000AB70: BF8A0000
	s_cmp_ge_i32 1, s72                                        // 00000000AB74: BF034881
	s_cbranch_scc1 label_1F15                                  // 00000000AB78: BF8503A2
	v_accvgpr_read_b32 v30, a192                               // 00000000AB7C: D3D8401E 180001C0
	v_accvgpr_read_b32 v31, a193                               // 00000000AB84: D3D8401F 180001C1
	v_mul_f32_e32 v30, s47, v30                                // 00000000AB8C: 0A3C3C2F
	v_mul_f32_e32 v31, s47, v31                                // 00000000AB90: 0A3E3E2F
	v_cmp_u_f32_e64 s[78:79], v30, v30                         // 00000000AB94: D048004E 00023D1E
	v_bfe_u32 v248, v30, 16, 1                                 // 00000000AB9C: D1C800F8 0205211E
	v_add3_u32 v248, v30, v248, v251                           // 00000000ABA4: D1FF00F8 07EFF11E
	v_cndmask_b32_e64 v28, v248, v250, s[78:79]                // 00000000ABAC: D100001C 013BF5F8
	v_lshrrev_b32_e32 v28, 16, v28                             // 00000000ABB4: 20383890
	v_cmp_u_f32_e64 s[78:79], v31, v31                         // 00000000ABB8: D048004E 00023F1F
	v_bfe_u32 v248, v31, 16, 1                                 // 00000000ABC0: D1C800F8 0205211F
	v_add3_u32 v248, v31, v248, v251                           // 00000000ABC8: D1FF00F8 07EFF11F
	v_cndmask_b32_e64 v29, v248, v250, s[78:79]                // 00000000ABD0: D100001D 013BF5F8
	v_and_or_b32 v64, v29, v249, v28                           // 00000000ABD8: D2010040 0473F31D
	v_accvgpr_read_b32 v30, a194                               // 00000000ABE0: D3D8401E 180001C2
	v_accvgpr_read_b32 v31, a195                               // 00000000ABE8: D3D8401F 180001C3
	v_mul_f32_e32 v30, s47, v30                                // 00000000ABF0: 0A3C3C2F
	v_mul_f32_e32 v31, s47, v31                                // 00000000ABF4: 0A3E3E2F
	v_cmp_u_f32_e64 s[78:79], v30, v30                         // 00000000ABF8: D048004E 00023D1E
	v_bfe_u32 v248, v30, 16, 1                                 // 00000000AC00: D1C800F8 0205211E
	v_add3_u32 v248, v30, v248, v251                           // 00000000AC08: D1FF00F8 07EFF11E
	v_cndmask_b32_e64 v28, v248, v250, s[78:79]                // 00000000AC10: D100001C 013BF5F8
	v_lshrrev_b32_e32 v28, 16, v28                             // 00000000AC18: 20383890
	v_cmp_u_f32_e64 s[78:79], v31, v31                         // 00000000AC1C: D048004E 00023F1F
	v_bfe_u32 v248, v31, 16, 1                                 // 00000000AC24: D1C800F8 0205211F
	v_add3_u32 v248, v31, v248, v251                           // 00000000AC2C: D1FF00F8 07EFF11F
	v_cndmask_b32_e64 v29, v248, v250, s[78:79]                // 00000000AC34: D100001D 013BF5F8
	v_and_or_b32 v65, v29, v249, v28                           // 00000000AC3C: D2010041 0473F31D
	v_accvgpr_read_b32 v30, a196                               // 00000000AC44: D3D8401E 180001C4
	v_accvgpr_read_b32 v31, a197                               // 00000000AC4C: D3D8401F 180001C5
	v_mul_f32_e32 v30, s47, v30                                // 00000000AC54: 0A3C3C2F
	v_mul_f32_e32 v31, s47, v31                                // 00000000AC58: 0A3E3E2F
	v_cmp_u_f32_e64 s[78:79], v30, v30                         // 00000000AC5C: D048004E 00023D1E
	v_bfe_u32 v248, v30, 16, 1                                 // 00000000AC64: D1C800F8 0205211E
	v_add3_u32 v248, v30, v248, v251                           // 00000000AC6C: D1FF00F8 07EFF11E
	v_cndmask_b32_e64 v28, v248, v250, s[78:79]                // 00000000AC74: D100001C 013BF5F8
	v_lshrrev_b32_e32 v28, 16, v28                             // 00000000AC7C: 20383890
	v_cmp_u_f32_e64 s[78:79], v31, v31                         // 00000000AC80: D048004E 00023F1F
	v_bfe_u32 v248, v31, 16, 1                                 // 00000000AC88: D1C800F8 0205211F
	v_add3_u32 v248, v31, v248, v251                           // 00000000AC90: D1FF00F8 07EFF11F
	v_cndmask_b32_e64 v29, v248, v250, s[78:79]                // 00000000AC98: D100001D 013BF5F8
	v_and_or_b32 v66, v29, v249, v28                           // 00000000ACA0: D2010042 0473F31D
	v_accvgpr_read_b32 v30, a198                               // 00000000ACA8: D3D8401E 180001C6
	v_accvgpr_read_b32 v31, a199                               // 00000000ACB0: D3D8401F 180001C7
	v_mul_f32_e32 v30, s47, v30                                // 00000000ACB8: 0A3C3C2F
	v_mul_f32_e32 v31, s47, v31                                // 00000000ACBC: 0A3E3E2F
	v_cmp_u_f32_e64 s[78:79], v30, v30                         // 00000000ACC0: D048004E 00023D1E
	v_bfe_u32 v248, v30, 16, 1                                 // 00000000ACC8: D1C800F8 0205211E
	v_add3_u32 v248, v30, v248, v251                           // 00000000ACD0: D1FF00F8 07EFF11E
	v_cndmask_b32_e64 v28, v248, v250, s[78:79]                // 00000000ACD8: D100001C 013BF5F8
	v_lshrrev_b32_e32 v28, 16, v28                             // 00000000ACE0: 20383890
	v_cmp_u_f32_e64 s[78:79], v31, v31                         // 00000000ACE4: D048004E 00023F1F
	v_bfe_u32 v248, v31, 16, 1                                 // 00000000ACEC: D1C800F8 0205211F
	v_add3_u32 v248, v31, v248, v251                           // 00000000ACF4: D1FF00F8 07EFF11F
	v_cndmask_b32_e64 v29, v248, v250, s[78:79]                // 00000000ACFC: D100001D 013BF5F8
	v_and_or_b32 v67, v29, v249, v28                           // 00000000AD04: D2010043 0473F31D
	v_accvgpr_read_b32 v30, a200                               // 00000000AD0C: D3D8401E 180001C8
	v_accvgpr_read_b32 v31, a201                               // 00000000AD14: D3D8401F 180001C9
	v_mul_f32_e32 v30, s47, v30                                // 00000000AD1C: 0A3C3C2F
	v_mul_f32_e32 v31, s47, v31                                // 00000000AD20: 0A3E3E2F
	v_cmp_u_f32_e64 s[78:79], v30, v30                         // 00000000AD24: D048004E 00023D1E
	v_bfe_u32 v248, v30, 16, 1                                 // 00000000AD2C: D1C800F8 0205211E
	v_add3_u32 v248, v30, v248, v251                           // 00000000AD34: D1FF00F8 07EFF11E
	v_cndmask_b32_e64 v28, v248, v250, s[78:79]                // 00000000AD3C: D100001C 013BF5F8
	v_lshrrev_b32_e32 v28, 16, v28                             // 00000000AD44: 20383890
	v_cmp_u_f32_e64 s[78:79], v31, v31                         // 00000000AD48: D048004E 00023F1F
	v_bfe_u32 v248, v31, 16, 1                                 // 00000000AD50: D1C800F8 0205211F
	v_add3_u32 v248, v31, v248, v251                           // 00000000AD58: D1FF00F8 07EFF11F
	v_cndmask_b32_e64 v29, v248, v250, s[78:79]                // 00000000AD60: D100001D 013BF5F8
	v_and_or_b32 v68, v29, v249, v28                           // 00000000AD68: D2010044 0473F31D
	v_accvgpr_read_b32 v30, a202                               // 00000000AD70: D3D8401E 180001CA
	v_accvgpr_read_b32 v31, a203                               // 00000000AD78: D3D8401F 180001CB
	v_mul_f32_e32 v30, s47, v30                                // 00000000AD80: 0A3C3C2F
	v_mul_f32_e32 v31, s47, v31                                // 00000000AD84: 0A3E3E2F
	v_cmp_u_f32_e64 s[78:79], v30, v30                         // 00000000AD88: D048004E 00023D1E
	v_bfe_u32 v248, v30, 16, 1                                 // 00000000AD90: D1C800F8 0205211E
	v_add3_u32 v248, v30, v248, v251                           // 00000000AD98: D1FF00F8 07EFF11E
	v_cndmask_b32_e64 v28, v248, v250, s[78:79]                // 00000000ADA0: D100001C 013BF5F8
	v_lshrrev_b32_e32 v28, 16, v28                             // 00000000ADA8: 20383890
	v_cmp_u_f32_e64 s[78:79], v31, v31                         // 00000000ADAC: D048004E 00023F1F
	v_bfe_u32 v248, v31, 16, 1                                 // 00000000ADB4: D1C800F8 0205211F
	v_add3_u32 v248, v31, v248, v251                           // 00000000ADBC: D1FF00F8 07EFF11F
	v_cndmask_b32_e64 v29, v248, v250, s[78:79]                // 00000000ADC4: D100001D 013BF5F8
	v_and_or_b32 v69, v29, v249, v28                           // 00000000ADCC: D2010045 0473F31D
	v_accvgpr_read_b32 v30, a204                               // 00000000ADD4: D3D8401E 180001CC
	v_accvgpr_read_b32 v31, a205                               // 00000000ADDC: D3D8401F 180001CD
	v_mul_f32_e32 v30, s47, v30                                // 00000000ADE4: 0A3C3C2F
	v_mul_f32_e32 v31, s47, v31                                // 00000000ADE8: 0A3E3E2F
	v_cmp_u_f32_e64 s[78:79], v30, v30                         // 00000000ADEC: D048004E 00023D1E
	v_bfe_u32 v248, v30, 16, 1                                 // 00000000ADF4: D1C800F8 0205211E
	v_add3_u32 v248, v30, v248, v251                           // 00000000ADFC: D1FF00F8 07EFF11E
	v_cndmask_b32_e64 v28, v248, v250, s[78:79]                // 00000000AE04: D100001C 013BF5F8
	v_lshrrev_b32_e32 v28, 16, v28                             // 00000000AE0C: 20383890
	v_cmp_u_f32_e64 s[78:79], v31, v31                         // 00000000AE10: D048004E 00023F1F
	v_bfe_u32 v248, v31, 16, 1                                 // 00000000AE18: D1C800F8 0205211F
	v_add3_u32 v248, v31, v248, v251                           // 00000000AE20: D1FF00F8 07EFF11F
	v_cndmask_b32_e64 v29, v248, v250, s[78:79]                // 00000000AE28: D100001D 013BF5F8
	v_and_or_b32 v70, v29, v249, v28                           // 00000000AE30: D2010046 0473F31D
	v_accvgpr_read_b32 v30, a206                               // 00000000AE38: D3D8401E 180001CE
	v_accvgpr_read_b32 v31, a207                               // 00000000AE40: D3D8401F 180001CF
	v_mul_f32_e32 v30, s47, v30                                // 00000000AE48: 0A3C3C2F
	v_mul_f32_e32 v31, s47, v31                                // 00000000AE4C: 0A3E3E2F
	v_cmp_u_f32_e64 s[78:79], v30, v30                         // 00000000AE50: D048004E 00023D1E
	v_bfe_u32 v248, v30, 16, 1                                 // 00000000AE58: D1C800F8 0205211E
	v_add3_u32 v248, v30, v248, v251                           // 00000000AE60: D1FF00F8 07EFF11E
	v_cndmask_b32_e64 v28, v248, v250, s[78:79]                // 00000000AE68: D100001C 013BF5F8
	v_lshrrev_b32_e32 v28, 16, v28                             // 00000000AE70: 20383890
	v_cmp_u_f32_e64 s[78:79], v31, v31                         // 00000000AE74: D048004E 00023F1F
	v_bfe_u32 v248, v31, 16, 1                                 // 00000000AE7C: D1C800F8 0205211F
	v_add3_u32 v248, v31, v248, v251                           // 00000000AE84: D1FF00F8 07EFF11F
	v_cndmask_b32_e64 v29, v248, v250, s[78:79]                // 00000000AE8C: D100001D 013BF5F8
	v_and_or_b32 v71, v29, v249, v28                           // 00000000AE94: D2010047 0473F31D
	v_accvgpr_read_b32 v30, a208                               // 00000000AE9C: D3D8401E 180001D0
	v_accvgpr_read_b32 v31, a209                               // 00000000AEA4: D3D8401F 180001D1
	v_mul_f32_e32 v30, s47, v30                                // 00000000AEAC: 0A3C3C2F
	v_mul_f32_e32 v31, s47, v31                                // 00000000AEB0: 0A3E3E2F
	v_cmp_u_f32_e64 s[78:79], v30, v30                         // 00000000AEB4: D048004E 00023D1E
	v_bfe_u32 v248, v30, 16, 1                                 // 00000000AEBC: D1C800F8 0205211E
	v_add3_u32 v248, v30, v248, v251                           // 00000000AEC4: D1FF00F8 07EFF11E
	v_cndmask_b32_e64 v28, v248, v250, s[78:79]                // 00000000AECC: D100001C 013BF5F8
	v_lshrrev_b32_e32 v28, 16, v28                             // 00000000AED4: 20383890
	v_cmp_u_f32_e64 s[78:79], v31, v31                         // 00000000AED8: D048004E 00023F1F
	v_bfe_u32 v248, v31, 16, 1                                 // 00000000AEE0: D1C800F8 0205211F
	v_add3_u32 v248, v31, v248, v251                           // 00000000AEE8: D1FF00F8 07EFF11F
	v_cndmask_b32_e64 v29, v248, v250, s[78:79]                // 00000000AEF0: D100001D 013BF5F8
	v_and_or_b32 v72, v29, v249, v28                           // 00000000AEF8: D2010048 0473F31D
	v_accvgpr_read_b32 v30, a210                               // 00000000AF00: D3D8401E 180001D2
	v_accvgpr_read_b32 v31, a211                               // 00000000AF08: D3D8401F 180001D3
	v_mul_f32_e32 v30, s47, v30                                // 00000000AF10: 0A3C3C2F
	v_mul_f32_e32 v31, s47, v31                                // 00000000AF14: 0A3E3E2F
	v_cmp_u_f32_e64 s[78:79], v30, v30                         // 00000000AF18: D048004E 00023D1E
	v_bfe_u32 v248, v30, 16, 1                                 // 00000000AF20: D1C800F8 0205211E
	v_add3_u32 v248, v30, v248, v251                           // 00000000AF28: D1FF00F8 07EFF11E
	v_cndmask_b32_e64 v28, v248, v250, s[78:79]                // 00000000AF30: D100001C 013BF5F8
	v_lshrrev_b32_e32 v28, 16, v28                             // 00000000AF38: 20383890
	v_cmp_u_f32_e64 s[78:79], v31, v31                         // 00000000AF3C: D048004E 00023F1F
	v_bfe_u32 v248, v31, 16, 1                                 // 00000000AF44: D1C800F8 0205211F
	v_add3_u32 v248, v31, v248, v251                           // 00000000AF4C: D1FF00F8 07EFF11F
	v_cndmask_b32_e64 v29, v248, v250, s[78:79]                // 00000000AF54: D100001D 013BF5F8
	v_and_or_b32 v73, v29, v249, v28                           // 00000000AF5C: D2010049 0473F31D
	v_accvgpr_read_b32 v30, a212                               // 00000000AF64: D3D8401E 180001D4
	v_accvgpr_read_b32 v31, a213                               // 00000000AF6C: D3D8401F 180001D5
	v_mul_f32_e32 v30, s47, v30                                // 00000000AF74: 0A3C3C2F
	v_mul_f32_e32 v31, s47, v31                                // 00000000AF78: 0A3E3E2F
	v_cmp_u_f32_e64 s[78:79], v30, v30                         // 00000000AF7C: D048004E 00023D1E
	v_bfe_u32 v248, v30, 16, 1                                 // 00000000AF84: D1C800F8 0205211E
	v_add3_u32 v248, v30, v248, v251                           // 00000000AF8C: D1FF00F8 07EFF11E
	v_cndmask_b32_e64 v28, v248, v250, s[78:79]                // 00000000AF94: D100001C 013BF5F8
	v_lshrrev_b32_e32 v28, 16, v28                             // 00000000AF9C: 20383890
	v_cmp_u_f32_e64 s[78:79], v31, v31                         // 00000000AFA0: D048004E 00023F1F
	v_bfe_u32 v248, v31, 16, 1                                 // 00000000AFA8: D1C800F8 0205211F
	v_add3_u32 v248, v31, v248, v251                           // 00000000AFB0: D1FF00F8 07EFF11F
	v_cndmask_b32_e64 v29, v248, v250, s[78:79]                // 00000000AFB8: D100001D 013BF5F8
	v_and_or_b32 v74, v29, v249, v28                           // 00000000AFC0: D201004A 0473F31D
	v_accvgpr_read_b32 v30, a214                               // 00000000AFC8: D3D8401E 180001D6
	v_accvgpr_read_b32 v31, a215                               // 00000000AFD0: D3D8401F 180001D7
	v_mul_f32_e32 v30, s47, v30                                // 00000000AFD8: 0A3C3C2F
	v_mul_f32_e32 v31, s47, v31                                // 00000000AFDC: 0A3E3E2F
	v_cmp_u_f32_e64 s[78:79], v30, v30                         // 00000000AFE0: D048004E 00023D1E
	v_bfe_u32 v248, v30, 16, 1                                 // 00000000AFE8: D1C800F8 0205211E
	v_add3_u32 v248, v30, v248, v251                           // 00000000AFF0: D1FF00F8 07EFF11E
	v_cndmask_b32_e64 v28, v248, v250, s[78:79]                // 00000000AFF8: D100001C 013BF5F8
	v_lshrrev_b32_e32 v28, 16, v28                             // 00000000B000: 20383890
	v_cmp_u_f32_e64 s[78:79], v31, v31                         // 00000000B004: D048004E 00023F1F
	v_bfe_u32 v248, v31, 16, 1                                 // 00000000B00C: D1C800F8 0205211F
	v_add3_u32 v248, v31, v248, v251                           // 00000000B014: D1FF00F8 07EFF11F
	v_cndmask_b32_e64 v29, v248, v250, s[78:79]                // 00000000B01C: D100001D 013BF5F8
	v_and_or_b32 v75, v29, v249, v28                           // 00000000B024: D201004B 0473F31D
	v_accvgpr_read_b32 v30, a216                               // 00000000B02C: D3D8401E 180001D8
	v_accvgpr_read_b32 v31, a217                               // 00000000B034: D3D8401F 180001D9
	v_mul_f32_e32 v30, s47, v30                                // 00000000B03C: 0A3C3C2F
	v_mul_f32_e32 v31, s47, v31                                // 00000000B040: 0A3E3E2F
	v_cmp_u_f32_e64 s[78:79], v30, v30                         // 00000000B044: D048004E 00023D1E
	v_bfe_u32 v248, v30, 16, 1                                 // 00000000B04C: D1C800F8 0205211E
	v_add3_u32 v248, v30, v248, v251                           // 00000000B054: D1FF00F8 07EFF11E
	v_cndmask_b32_e64 v28, v248, v250, s[78:79]                // 00000000B05C: D100001C 013BF5F8
	v_lshrrev_b32_e32 v28, 16, v28                             // 00000000B064: 20383890
	v_cmp_u_f32_e64 s[78:79], v31, v31                         // 00000000B068: D048004E 00023F1F
	v_bfe_u32 v248, v31, 16, 1                                 // 00000000B070: D1C800F8 0205211F
	v_add3_u32 v248, v31, v248, v251                           // 00000000B078: D1FF00F8 07EFF11F
	v_cndmask_b32_e64 v29, v248, v250, s[78:79]                // 00000000B080: D100001D 013BF5F8
	v_and_or_b32 v76, v29, v249, v28                           // 00000000B088: D201004C 0473F31D
	v_accvgpr_read_b32 v30, a218                               // 00000000B090: D3D8401E 180001DA
	v_accvgpr_read_b32 v31, a219                               // 00000000B098: D3D8401F 180001DB
	v_mul_f32_e32 v30, s47, v30                                // 00000000B0A0: 0A3C3C2F
	v_mul_f32_e32 v31, s47, v31                                // 00000000B0A4: 0A3E3E2F
	v_cmp_u_f32_e64 s[78:79], v30, v30                         // 00000000B0A8: D048004E 00023D1E
	v_bfe_u32 v248, v30, 16, 1                                 // 00000000B0B0: D1C800F8 0205211E
	v_add3_u32 v248, v30, v248, v251                           // 00000000B0B8: D1FF00F8 07EFF11E
	v_cndmask_b32_e64 v28, v248, v250, s[78:79]                // 00000000B0C0: D100001C 013BF5F8
	v_lshrrev_b32_e32 v28, 16, v28                             // 00000000B0C8: 20383890
	v_cmp_u_f32_e64 s[78:79], v31, v31                         // 00000000B0CC: D048004E 00023F1F
	v_bfe_u32 v248, v31, 16, 1                                 // 00000000B0D4: D1C800F8 0205211F
	v_add3_u32 v248, v31, v248, v251                           // 00000000B0DC: D1FF00F8 07EFF11F
	v_cndmask_b32_e64 v29, v248, v250, s[78:79]                // 00000000B0E4: D100001D 013BF5F8
	v_and_or_b32 v77, v29, v249, v28                           // 00000000B0EC: D201004D 0473F31D
	v_accvgpr_read_b32 v30, a220                               // 00000000B0F4: D3D8401E 180001DC
	v_accvgpr_read_b32 v31, a221                               // 00000000B0FC: D3D8401F 180001DD
	v_mul_f32_e32 v30, s47, v30                                // 00000000B104: 0A3C3C2F
	v_mul_f32_e32 v31, s47, v31                                // 00000000B108: 0A3E3E2F
	v_cmp_u_f32_e64 s[78:79], v30, v30                         // 00000000B10C: D048004E 00023D1E
	v_bfe_u32 v248, v30, 16, 1                                 // 00000000B114: D1C800F8 0205211E
	v_add3_u32 v248, v30, v248, v251                           // 00000000B11C: D1FF00F8 07EFF11E
	v_cndmask_b32_e64 v28, v248, v250, s[78:79]                // 00000000B124: D100001C 013BF5F8
	v_lshrrev_b32_e32 v28, 16, v28                             // 00000000B12C: 20383890
	v_cmp_u_f32_e64 s[78:79], v31, v31                         // 00000000B130: D048004E 00023F1F
	v_bfe_u32 v248, v31, 16, 1                                 // 00000000B138: D1C800F8 0205211F
	v_add3_u32 v248, v31, v248, v251                           // 00000000B140: D1FF00F8 07EFF11F
	v_cndmask_b32_e64 v29, v248, v250, s[78:79]                // 00000000B148: D100001D 013BF5F8
	v_and_or_b32 v78, v29, v249, v28                           // 00000000B150: D201004E 0473F31D
	v_accvgpr_read_b32 v30, a222                               // 00000000B158: D3D8401E 180001DE
	v_accvgpr_read_b32 v31, a223                               // 00000000B160: D3D8401F 180001DF
	v_mul_f32_e32 v30, s47, v30                                // 00000000B168: 0A3C3C2F
	v_mul_f32_e32 v31, s47, v31                                // 00000000B16C: 0A3E3E2F
	v_cmp_u_f32_e64 s[78:79], v30, v30                         // 00000000B170: D048004E 00023D1E
	v_bfe_u32 v248, v30, 16, 1                                 // 00000000B178: D1C800F8 0205211E
	v_add3_u32 v248, v30, v248, v251                           // 00000000B180: D1FF00F8 07EFF11E
	v_cndmask_b32_e64 v28, v248, v250, s[78:79]                // 00000000B188: D100001C 013BF5F8
	v_lshrrev_b32_e32 v28, 16, v28                             // 00000000B190: 20383890
	v_cmp_u_f32_e64 s[78:79], v31, v31                         // 00000000B194: D048004E 00023F1F
	v_bfe_u32 v248, v31, 16, 1                                 // 00000000B19C: D1C800F8 0205211F
	v_add3_u32 v248, v31, v248, v251                           // 00000000B1A4: D1FF00F8 07EFF11F
	v_cndmask_b32_e64 v29, v248, v250, s[78:79]                // 00000000B1AC: D100001D 013BF5F8
	v_and_or_b32 v79, v29, v249, v28                           // 00000000B1B4: D201004F 0473F31D
	ds_write_b64 v25, v[64:65] offset:16896                    // 00000000B1BC: D89A4200 00004019
	ds_write_b64 v25, v[66:67] offset:17424                    // 00000000B1C4: D89A4410 00004219
	ds_write_b64 v25, v[68:69] offset:17952                    // 00000000B1CC: D89A4620 00004419
	ds_write_b64 v25, v[70:71] offset:18480                    // 00000000B1D4: D89A4830 00004619
	ds_write_b64 v25, v[72:73] offset:19008                    // 00000000B1DC: D89A4A40 00004819
	ds_write_b64 v25, v[74:75] offset:19536                    // 00000000B1E4: D89A4C50 00004A19
	ds_write_b64 v25, v[76:77] offset:20064                    // 00000000B1EC: D89A4E60 00004C19
	ds_write_b64 v25, v[78:79] offset:20592                    // 00000000B1F4: D89A5070 00004E19
	s_waitcnt lgkmcnt(0)                                       // 00000000B1FC: BF8CC07F
	s_barrier                                                  // 00000000B200: BF8A0000
	ds_read_b64 v[64:65], v24 offset:16896                     // 00000000B204: D8EC4200 40000018
	ds_read_b64 v[66:67], v24 offset:17024                     // 00000000B20C: D8EC4280 42000018
	ds_read_b64 v[68:69], v24 offset:16928                     // 00000000B214: D8EC4220 44000018
	ds_read_b64 v[70:71], v24 offset:17056                     // 00000000B21C: D8EC42A0 46000018
	ds_read_b64 v[72:73], v24 offset:16960                     // 00000000B224: D8EC4240 48000018
	ds_read_b64 v[74:75], v24 offset:17088                     // 00000000B22C: D8EC42C0 4A000018
	ds_read_b64 v[76:77], v24 offset:16992                     // 00000000B234: D8EC4260 4C000018
	ds_read_b64 v[78:79], v24 offset:17120                     // 00000000B23C: D8EC42E0 4E000018
	s_waitcnt lgkmcnt(0)                                       // 00000000B244: BF8CC07F
	s_mov_b32 s70, s52                                         // 00000000B248: BEC60034
	s_mov_b64 exec, s[92:93]                                   // 00000000B24C: BEFE015C
	buffer_store_dwordx4 v[64:67], v5, s[36:39], 0 idxen       // 00000000B250: E07C2000 80094005
	s_mov_b32 exec_lo, -1                                      // 00000000B258: BEFE00C1
	s_mov_b32 exec_hi, -1                                      // 00000000B25C: BEFF00C1
	v_add_u32_e32 v5, s70, v5                                  // 00000000B260: 680A0A46
	s_mov_b64 exec, s[92:93]                                   // 00000000B264: BEFE015C
	buffer_store_dwordx4 v[68:71], v5, s[36:39], 0 idxen       // 00000000B268: E07C2000 80094405
	s_mov_b32 exec_lo, -1                                      // 00000000B270: BEFE00C1
	s_mov_b32 exec_hi, -1                                      // 00000000B274: BEFF00C1
	v_add_u32_e32 v5, s70, v5                                  // 00000000B278: 680A0A46
	s_mov_b64 exec, s[92:93]                                   // 00000000B27C: BEFE015C
	buffer_store_dwordx4 v[72:75], v5, s[36:39], 0 idxen       // 00000000B280: E07C2000 80094805
	s_mov_b32 exec_lo, -1                                      // 00000000B288: BEFE00C1
	s_mov_b32 exec_hi, -1                                      // 00000000B28C: BEFF00C1
	v_add_u32_e32 v5, s70, v5                                  // 00000000B290: 680A0A46
	s_mov_b64 exec, s[92:93]                                   // 00000000B294: BEFE015C
	buffer_store_dwordx4 v[76:79], v5, s[36:39], 0 idxen       // 00000000B298: E07C2000 80094C05
	s_mov_b32 exec_lo, -1                                      // 00000000B2A0: BEFE00C1
	s_mov_b32 exec_hi, -1                                      // 00000000B2A4: BEFF00C1
	v_add_u32_e32 v5, s70, v5                                  // 00000000B2A8: 680A0A46
	s_mul_i32 s60, 12, s70                                     // 00000000B2AC: 923C468C
	v_add_u32_e32 v5, s60, v5                                  // 00000000B2B0: 680A0A3C
	s_barrier                                                  // 00000000B2B4: BF8A0000
	s_cmp_ge_i32 2, s72                                        // 00000000B2B8: BF034882
	s_cbranch_scc1 label_1F15                                  // 00000000B2BC: BF8501D1
	v_accvgpr_read_b32 v30, a224                               // 00000000B2C0: D3D8401E 180001E0
	v_accvgpr_read_b32 v31, a225                               // 00000000B2C8: D3D8401F 180001E1
	v_mul_f32_e32 v30, s47, v30                                // 00000000B2D0: 0A3C3C2F
	v_mul_f32_e32 v31, s47, v31                                // 00000000B2D4: 0A3E3E2F
	v_cmp_u_f32_e64 s[78:79], v30, v30                         // 00000000B2D8: D048004E 00023D1E
	v_bfe_u32 v248, v30, 16, 1                                 // 00000000B2E0: D1C800F8 0205211E
	v_add3_u32 v248, v30, v248, v251                           // 00000000B2E8: D1FF00F8 07EFF11E
	v_cndmask_b32_e64 v28, v248, v250, s[78:79]                // 00000000B2F0: D100001C 013BF5F8
	v_lshrrev_b32_e32 v28, 16, v28                             // 00000000B2F8: 20383890
	v_cmp_u_f32_e64 s[78:79], v31, v31                         // 00000000B2FC: D048004E 00023F1F
	v_bfe_u32 v248, v31, 16, 1                                 // 00000000B304: D1C800F8 0205211F
	v_add3_u32 v248, v31, v248, v251                           // 00000000B30C: D1FF00F8 07EFF11F
	v_cndmask_b32_e64 v29, v248, v250, s[78:79]                // 00000000B314: D100001D 013BF5F8
	v_and_or_b32 v80, v29, v249, v28                           // 00000000B31C: D2010050 0473F31D
	v_accvgpr_read_b32 v30, a226                               // 00000000B324: D3D8401E 180001E2
	v_accvgpr_read_b32 v31, a227                               // 00000000B32C: D3D8401F 180001E3
	v_mul_f32_e32 v30, s47, v30                                // 00000000B334: 0A3C3C2F
	v_mul_f32_e32 v31, s47, v31                                // 00000000B338: 0A3E3E2F
	v_cmp_u_f32_e64 s[78:79], v30, v30                         // 00000000B33C: D048004E 00023D1E
	v_bfe_u32 v248, v30, 16, 1                                 // 00000000B344: D1C800F8 0205211E
	v_add3_u32 v248, v30, v248, v251                           // 00000000B34C: D1FF00F8 07EFF11E
	v_cndmask_b32_e64 v28, v248, v250, s[78:79]                // 00000000B354: D100001C 013BF5F8
	v_lshrrev_b32_e32 v28, 16, v28                             // 00000000B35C: 20383890
	v_cmp_u_f32_e64 s[78:79], v31, v31                         // 00000000B360: D048004E 00023F1F
	v_bfe_u32 v248, v31, 16, 1                                 // 00000000B368: D1C800F8 0205211F
	v_add3_u32 v248, v31, v248, v251                           // 00000000B370: D1FF00F8 07EFF11F
	v_cndmask_b32_e64 v29, v248, v250, s[78:79]                // 00000000B378: D100001D 013BF5F8
	v_and_or_b32 v81, v29, v249, v28                           // 00000000B380: D2010051 0473F31D
	v_accvgpr_read_b32 v30, a228                               // 00000000B388: D3D8401E 180001E4
	v_accvgpr_read_b32 v31, a229                               // 00000000B390: D3D8401F 180001E5
	v_mul_f32_e32 v30, s47, v30                                // 00000000B398: 0A3C3C2F
	v_mul_f32_e32 v31, s47, v31                                // 00000000B39C: 0A3E3E2F
	v_cmp_u_f32_e64 s[78:79], v30, v30                         // 00000000B3A0: D048004E 00023D1E
	v_bfe_u32 v248, v30, 16, 1                                 // 00000000B3A8: D1C800F8 0205211E
	v_add3_u32 v248, v30, v248, v251                           // 00000000B3B0: D1FF00F8 07EFF11E
	v_cndmask_b32_e64 v28, v248, v250, s[78:79]                // 00000000B3B8: D100001C 013BF5F8
	v_lshrrev_b32_e32 v28, 16, v28                             // 00000000B3C0: 20383890
	v_cmp_u_f32_e64 s[78:79], v31, v31                         // 00000000B3C4: D048004E 00023F1F
	v_bfe_u32 v248, v31, 16, 1                                 // 00000000B3CC: D1C800F8 0205211F
	v_add3_u32 v248, v31, v248, v251                           // 00000000B3D4: D1FF00F8 07EFF11F
	v_cndmask_b32_e64 v29, v248, v250, s[78:79]                // 00000000B3DC: D100001D 013BF5F8
	v_and_or_b32 v82, v29, v249, v28                           // 00000000B3E4: D2010052 0473F31D
	v_accvgpr_read_b32 v30, a230                               // 00000000B3EC: D3D8401E 180001E6
	v_accvgpr_read_b32 v31, a231                               // 00000000B3F4: D3D8401F 180001E7
	v_mul_f32_e32 v30, s47, v30                                // 00000000B3FC: 0A3C3C2F
	v_mul_f32_e32 v31, s47, v31                                // 00000000B400: 0A3E3E2F
	v_cmp_u_f32_e64 s[78:79], v30, v30                         // 00000000B404: D048004E 00023D1E
	v_bfe_u32 v248, v30, 16, 1                                 // 00000000B40C: D1C800F8 0205211E
	v_add3_u32 v248, v30, v248, v251                           // 00000000B414: D1FF00F8 07EFF11E
	v_cndmask_b32_e64 v28, v248, v250, s[78:79]                // 00000000B41C: D100001C 013BF5F8
	v_lshrrev_b32_e32 v28, 16, v28                             // 00000000B424: 20383890
	v_cmp_u_f32_e64 s[78:79], v31, v31                         // 00000000B428: D048004E 00023F1F
	v_bfe_u32 v248, v31, 16, 1                                 // 00000000B430: D1C800F8 0205211F
	v_add3_u32 v248, v31, v248, v251                           // 00000000B438: D1FF00F8 07EFF11F
	v_cndmask_b32_e64 v29, v248, v250, s[78:79]                // 00000000B440: D100001D 013BF5F8
	v_and_or_b32 v83, v29, v249, v28                           // 00000000B448: D2010053 0473F31D
	v_accvgpr_read_b32 v30, a232                               // 00000000B450: D3D8401E 180001E8
	v_accvgpr_read_b32 v31, a233                               // 00000000B458: D3D8401F 180001E9
	v_mul_f32_e32 v30, s47, v30                                // 00000000B460: 0A3C3C2F
	v_mul_f32_e32 v31, s47, v31                                // 00000000B464: 0A3E3E2F
	v_cmp_u_f32_e64 s[78:79], v30, v30                         // 00000000B468: D048004E 00023D1E
	v_bfe_u32 v248, v30, 16, 1                                 // 00000000B470: D1C800F8 0205211E
	v_add3_u32 v248, v30, v248, v251                           // 00000000B478: D1FF00F8 07EFF11E
	v_cndmask_b32_e64 v28, v248, v250, s[78:79]                // 00000000B480: D100001C 013BF5F8
	v_lshrrev_b32_e32 v28, 16, v28                             // 00000000B488: 20383890
	v_cmp_u_f32_e64 s[78:79], v31, v31                         // 00000000B48C: D048004E 00023F1F
	v_bfe_u32 v248, v31, 16, 1                                 // 00000000B494: D1C800F8 0205211F
	v_add3_u32 v248, v31, v248, v251                           // 00000000B49C: D1FF00F8 07EFF11F
	v_cndmask_b32_e64 v29, v248, v250, s[78:79]                // 00000000B4A4: D100001D 013BF5F8
	v_and_or_b32 v84, v29, v249, v28                           // 00000000B4AC: D2010054 0473F31D
	v_accvgpr_read_b32 v30, a234                               // 00000000B4B4: D3D8401E 180001EA
	v_accvgpr_read_b32 v31, a235                               // 00000000B4BC: D3D8401F 180001EB
	v_mul_f32_e32 v30, s47, v30                                // 00000000B4C4: 0A3C3C2F
	v_mul_f32_e32 v31, s47, v31                                // 00000000B4C8: 0A3E3E2F
	v_cmp_u_f32_e64 s[78:79], v30, v30                         // 00000000B4CC: D048004E 00023D1E
	v_bfe_u32 v248, v30, 16, 1                                 // 00000000B4D4: D1C800F8 0205211E
	v_add3_u32 v248, v30, v248, v251                           // 00000000B4DC: D1FF00F8 07EFF11E
	v_cndmask_b32_e64 v28, v248, v250, s[78:79]                // 00000000B4E4: D100001C 013BF5F8
	v_lshrrev_b32_e32 v28, 16, v28                             // 00000000B4EC: 20383890
	v_cmp_u_f32_e64 s[78:79], v31, v31                         // 00000000B4F0: D048004E 00023F1F
	v_bfe_u32 v248, v31, 16, 1                                 // 00000000B4F8: D1C800F8 0205211F
	v_add3_u32 v248, v31, v248, v251                           // 00000000B500: D1FF00F8 07EFF11F
	v_cndmask_b32_e64 v29, v248, v250, s[78:79]                // 00000000B508: D100001D 013BF5F8
	v_and_or_b32 v85, v29, v249, v28                           // 00000000B510: D2010055 0473F31D
	v_accvgpr_read_b32 v30, a236                               // 00000000B518: D3D8401E 180001EC
	v_accvgpr_read_b32 v31, a237                               // 00000000B520: D3D8401F 180001ED
	v_mul_f32_e32 v30, s47, v30                                // 00000000B528: 0A3C3C2F
	v_mul_f32_e32 v31, s47, v31                                // 00000000B52C: 0A3E3E2F
	v_cmp_u_f32_e64 s[78:79], v30, v30                         // 00000000B530: D048004E 00023D1E
	v_bfe_u32 v248, v30, 16, 1                                 // 00000000B538: D1C800F8 0205211E
	v_add3_u32 v248, v30, v248, v251                           // 00000000B540: D1FF00F8 07EFF11E
	v_cndmask_b32_e64 v28, v248, v250, s[78:79]                // 00000000B548: D100001C 013BF5F8
	v_lshrrev_b32_e32 v28, 16, v28                             // 00000000B550: 20383890
	v_cmp_u_f32_e64 s[78:79], v31, v31                         // 00000000B554: D048004E 00023F1F
	v_bfe_u32 v248, v31, 16, 1                                 // 00000000B55C: D1C800F8 0205211F
	v_add3_u32 v248, v31, v248, v251                           // 00000000B564: D1FF00F8 07EFF11F
	v_cndmask_b32_e64 v29, v248, v250, s[78:79]                // 00000000B56C: D100001D 013BF5F8
	v_and_or_b32 v86, v29, v249, v28                           // 00000000B574: D2010056 0473F31D
	v_accvgpr_read_b32 v30, a238                               // 00000000B57C: D3D8401E 180001EE
	v_accvgpr_read_b32 v31, a239                               // 00000000B584: D3D8401F 180001EF
	v_mul_f32_e32 v30, s47, v30                                // 00000000B58C: 0A3C3C2F
	v_mul_f32_e32 v31, s47, v31                                // 00000000B590: 0A3E3E2F
	v_cmp_u_f32_e64 s[78:79], v30, v30                         // 00000000B594: D048004E 00023D1E
	v_bfe_u32 v248, v30, 16, 1                                 // 00000000B59C: D1C800F8 0205211E
	v_add3_u32 v248, v30, v248, v251                           // 00000000B5A4: D1FF00F8 07EFF11E
	v_cndmask_b32_e64 v28, v248, v250, s[78:79]                // 00000000B5AC: D100001C 013BF5F8
	v_lshrrev_b32_e32 v28, 16, v28                             // 00000000B5B4: 20383890
	v_cmp_u_f32_e64 s[78:79], v31, v31                         // 00000000B5B8: D048004E 00023F1F
	v_bfe_u32 v248, v31, 16, 1                                 // 00000000B5C0: D1C800F8 0205211F
	v_add3_u32 v248, v31, v248, v251                           // 00000000B5C8: D1FF00F8 07EFF11F
	v_cndmask_b32_e64 v29, v248, v250, s[78:79]                // 00000000B5D0: D100001D 013BF5F8
	v_and_or_b32 v87, v29, v249, v28                           // 00000000B5D8: D2010057 0473F31D
	v_accvgpr_read_b32 v30, a240                               // 00000000B5E0: D3D8401E 180001F0
	v_accvgpr_read_b32 v31, a241                               // 00000000B5E8: D3D8401F 180001F1
	v_mul_f32_e32 v30, s47, v30                                // 00000000B5F0: 0A3C3C2F
	v_mul_f32_e32 v31, s47, v31                                // 00000000B5F4: 0A3E3E2F
	v_cmp_u_f32_e64 s[78:79], v30, v30                         // 00000000B5F8: D048004E 00023D1E
	v_bfe_u32 v248, v30, 16, 1                                 // 00000000B600: D1C800F8 0205211E
	v_add3_u32 v248, v30, v248, v251                           // 00000000B608: D1FF00F8 07EFF11E
	v_cndmask_b32_e64 v28, v248, v250, s[78:79]                // 00000000B610: D100001C 013BF5F8
	v_lshrrev_b32_e32 v28, 16, v28                             // 00000000B618: 20383890
	v_cmp_u_f32_e64 s[78:79], v31, v31                         // 00000000B61C: D048004E 00023F1F
	v_bfe_u32 v248, v31, 16, 1                                 // 00000000B624: D1C800F8 0205211F
	v_add3_u32 v248, v31, v248, v251                           // 00000000B62C: D1FF00F8 07EFF11F
	v_cndmask_b32_e64 v29, v248, v250, s[78:79]                // 00000000B634: D100001D 013BF5F8
	v_and_or_b32 v88, v29, v249, v28                           // 00000000B63C: D2010058 0473F31D
	v_accvgpr_read_b32 v30, a242                               // 00000000B644: D3D8401E 180001F2
	v_accvgpr_read_b32 v31, a243                               // 00000000B64C: D3D8401F 180001F3
	v_mul_f32_e32 v30, s47, v30                                // 00000000B654: 0A3C3C2F
	v_mul_f32_e32 v31, s47, v31                                // 00000000B658: 0A3E3E2F
	v_cmp_u_f32_e64 s[78:79], v30, v30                         // 00000000B65C: D048004E 00023D1E
	v_bfe_u32 v248, v30, 16, 1                                 // 00000000B664: D1C800F8 0205211E
	v_add3_u32 v248, v30, v248, v251                           // 00000000B66C: D1FF00F8 07EFF11E
	v_cndmask_b32_e64 v28, v248, v250, s[78:79]                // 00000000B674: D100001C 013BF5F8
	v_lshrrev_b32_e32 v28, 16, v28                             // 00000000B67C: 20383890
	v_cmp_u_f32_e64 s[78:79], v31, v31                         // 00000000B680: D048004E 00023F1F
	v_bfe_u32 v248, v31, 16, 1                                 // 00000000B688: D1C800F8 0205211F
	v_add3_u32 v248, v31, v248, v251                           // 00000000B690: D1FF00F8 07EFF11F
	v_cndmask_b32_e64 v29, v248, v250, s[78:79]                // 00000000B698: D100001D 013BF5F8
	v_and_or_b32 v89, v29, v249, v28                           // 00000000B6A0: D2010059 0473F31D
	v_accvgpr_read_b32 v30, a244                               // 00000000B6A8: D3D8401E 180001F4
	v_accvgpr_read_b32 v31, a245                               // 00000000B6B0: D3D8401F 180001F5
	v_mul_f32_e32 v30, s47, v30                                // 00000000B6B8: 0A3C3C2F
	v_mul_f32_e32 v31, s47, v31                                // 00000000B6BC: 0A3E3E2F
	v_cmp_u_f32_e64 s[78:79], v30, v30                         // 00000000B6C0: D048004E 00023D1E
	v_bfe_u32 v248, v30, 16, 1                                 // 00000000B6C8: D1C800F8 0205211E
	v_add3_u32 v248, v30, v248, v251                           // 00000000B6D0: D1FF00F8 07EFF11E
	v_cndmask_b32_e64 v28, v248, v250, s[78:79]                // 00000000B6D8: D100001C 013BF5F8
	v_lshrrev_b32_e32 v28, 16, v28                             // 00000000B6E0: 20383890
	v_cmp_u_f32_e64 s[78:79], v31, v31                         // 00000000B6E4: D048004E 00023F1F
	v_bfe_u32 v248, v31, 16, 1                                 // 00000000B6EC: D1C800F8 0205211F
	v_add3_u32 v248, v31, v248, v251                           // 00000000B6F4: D1FF00F8 07EFF11F
	v_cndmask_b32_e64 v29, v248, v250, s[78:79]                // 00000000B6FC: D100001D 013BF5F8
	v_and_or_b32 v90, v29, v249, v28                           // 00000000B704: D201005A 0473F31D
	v_accvgpr_read_b32 v30, a246                               // 00000000B70C: D3D8401E 180001F6
	v_accvgpr_read_b32 v31, a247                               // 00000000B714: D3D8401F 180001F7
	v_mul_f32_e32 v30, s47, v30                                // 00000000B71C: 0A3C3C2F
	v_mul_f32_e32 v31, s47, v31                                // 00000000B720: 0A3E3E2F
	v_cmp_u_f32_e64 s[78:79], v30, v30                         // 00000000B724: D048004E 00023D1E
	v_bfe_u32 v248, v30, 16, 1                                 // 00000000B72C: D1C800F8 0205211E
	v_add3_u32 v248, v30, v248, v251                           // 00000000B734: D1FF00F8 07EFF11E
	v_cndmask_b32_e64 v28, v248, v250, s[78:79]                // 00000000B73C: D100001C 013BF5F8
	v_lshrrev_b32_e32 v28, 16, v28                             // 00000000B744: 20383890
	v_cmp_u_f32_e64 s[78:79], v31, v31                         // 00000000B748: D048004E 00023F1F
	v_bfe_u32 v248, v31, 16, 1                                 // 00000000B750: D1C800F8 0205211F
	v_add3_u32 v248, v31, v248, v251                           // 00000000B758: D1FF00F8 07EFF11F
	v_cndmask_b32_e64 v29, v248, v250, s[78:79]                // 00000000B760: D100001D 013BF5F8
	v_and_or_b32 v91, v29, v249, v28                           // 00000000B768: D201005B 0473F31D
	v_accvgpr_read_b32 v30, a248                               // 00000000B770: D3D8401E 180001F8
	v_accvgpr_read_b32 v31, a249                               // 00000000B778: D3D8401F 180001F9
	v_mul_f32_e32 v30, s47, v30                                // 00000000B780: 0A3C3C2F
	v_mul_f32_e32 v31, s47, v31                                // 00000000B784: 0A3E3E2F
	v_cmp_u_f32_e64 s[78:79], v30, v30                         // 00000000B788: D048004E 00023D1E
	v_bfe_u32 v248, v30, 16, 1                                 // 00000000B790: D1C800F8 0205211E
	v_add3_u32 v248, v30, v248, v251                           // 00000000B798: D1FF00F8 07EFF11E
	v_cndmask_b32_e64 v28, v248, v250, s[78:79]                // 00000000B7A0: D100001C 013BF5F8
	v_lshrrev_b32_e32 v28, 16, v28                             // 00000000B7A8: 20383890
	v_cmp_u_f32_e64 s[78:79], v31, v31                         // 00000000B7AC: D048004E 00023F1F
	v_bfe_u32 v248, v31, 16, 1                                 // 00000000B7B4: D1C800F8 0205211F
	v_add3_u32 v248, v31, v248, v251                           // 00000000B7BC: D1FF00F8 07EFF11F
	v_cndmask_b32_e64 v29, v248, v250, s[78:79]                // 00000000B7C4: D100001D 013BF5F8
	v_and_or_b32 v92, v29, v249, v28                           // 00000000B7CC: D201005C 0473F31D
	v_accvgpr_read_b32 v30, a250                               // 00000000B7D4: D3D8401E 180001FA
	v_accvgpr_read_b32 v31, a251                               // 00000000B7DC: D3D8401F 180001FB
	v_mul_f32_e32 v30, s47, v30                                // 00000000B7E4: 0A3C3C2F
	v_mul_f32_e32 v31, s47, v31                                // 00000000B7E8: 0A3E3E2F
	v_cmp_u_f32_e64 s[78:79], v30, v30                         // 00000000B7EC: D048004E 00023D1E
	v_bfe_u32 v248, v30, 16, 1                                 // 00000000B7F4: D1C800F8 0205211E
	v_add3_u32 v248, v30, v248, v251                           // 00000000B7FC: D1FF00F8 07EFF11E
	v_cndmask_b32_e64 v28, v248, v250, s[78:79]                // 00000000B804: D100001C 013BF5F8
	v_lshrrev_b32_e32 v28, 16, v28                             // 00000000B80C: 20383890
	v_cmp_u_f32_e64 s[78:79], v31, v31                         // 00000000B810: D048004E 00023F1F
	v_bfe_u32 v248, v31, 16, 1                                 // 00000000B818: D1C800F8 0205211F
	v_add3_u32 v248, v31, v248, v251                           // 00000000B820: D1FF00F8 07EFF11F
	v_cndmask_b32_e64 v29, v248, v250, s[78:79]                // 00000000B828: D100001D 013BF5F8
	v_and_or_b32 v93, v29, v249, v28                           // 00000000B830: D201005D 0473F31D
	v_accvgpr_read_b32 v30, a252                               // 00000000B838: D3D8401E 180001FC
	v_accvgpr_read_b32 v31, a253                               // 00000000B840: D3D8401F 180001FD
	v_mul_f32_e32 v30, s47, v30                                // 00000000B848: 0A3C3C2F
	v_mul_f32_e32 v31, s47, v31                                // 00000000B84C: 0A3E3E2F
	v_cmp_u_f32_e64 s[78:79], v30, v30                         // 00000000B850: D048004E 00023D1E
	v_bfe_u32 v248, v30, 16, 1                                 // 00000000B858: D1C800F8 0205211E
	v_add3_u32 v248, v30, v248, v251                           // 00000000B860: D1FF00F8 07EFF11E
	v_cndmask_b32_e64 v28, v248, v250, s[78:79]                // 00000000B868: D100001C 013BF5F8
	v_lshrrev_b32_e32 v28, 16, v28                             // 00000000B870: 20383890
	v_cmp_u_f32_e64 s[78:79], v31, v31                         // 00000000B874: D048004E 00023F1F
	v_bfe_u32 v248, v31, 16, 1                                 // 00000000B87C: D1C800F8 0205211F
	v_add3_u32 v248, v31, v248, v251                           // 00000000B884: D1FF00F8 07EFF11F
	v_cndmask_b32_e64 v29, v248, v250, s[78:79]                // 00000000B88C: D100001D 013BF5F8
	v_and_or_b32 v94, v29, v249, v28                           // 00000000B894: D201005E 0473F31D
	v_accvgpr_read_b32 v30, a254                               // 00000000B89C: D3D8401E 180001FE
	v_accvgpr_read_b32 v31, a255                               // 00000000B8A4: D3D8401F 180001FF
	v_mul_f32_e32 v30, s47, v30                                // 00000000B8AC: 0A3C3C2F
	v_mul_f32_e32 v31, s47, v31                                // 00000000B8B0: 0A3E3E2F
	v_cmp_u_f32_e64 s[78:79], v30, v30                         // 00000000B8B4: D048004E 00023D1E
	v_bfe_u32 v248, v30, 16, 1                                 // 00000000B8BC: D1C800F8 0205211E
	v_add3_u32 v248, v30, v248, v251                           // 00000000B8C4: D1FF00F8 07EFF11E
	v_cndmask_b32_e64 v28, v248, v250, s[78:79]                // 00000000B8CC: D100001C 013BF5F8
	v_lshrrev_b32_e32 v28, 16, v28                             // 00000000B8D4: 20383890
	v_cmp_u_f32_e64 s[78:79], v31, v31                         // 00000000B8D8: D048004E 00023F1F
	v_bfe_u32 v248, v31, 16, 1                                 // 00000000B8E0: D1C800F8 0205211F
	v_add3_u32 v248, v31, v248, v251                           // 00000000B8E8: D1FF00F8 07EFF11F
	v_cndmask_b32_e64 v29, v248, v250, s[78:79]                // 00000000B8F0: D100001D 013BF5F8
	v_and_or_b32 v95, v29, v249, v28                           // 00000000B8F8: D201005F 0473F31D
	ds_write_b64 v25, v[80:81] offset:33792                    // 00000000B900: D89A8400 00005019
	ds_write_b64 v25, v[82:83] offset:34320                    // 00000000B908: D89A8610 00005219
	ds_write_b64 v25, v[84:85] offset:34848                    // 00000000B910: D89A8820 00005419
	ds_write_b64 v25, v[86:87] offset:35376                    // 00000000B918: D89A8A30 00005619
	ds_write_b64 v25, v[88:89] offset:35904                    // 00000000B920: D89A8C40 00005819
	ds_write_b64 v25, v[90:91] offset:36432                    // 00000000B928: D89A8E50 00005A19
	ds_write_b64 v25, v[92:93] offset:36960                    // 00000000B930: D89A9060 00005C19
	ds_write_b64 v25, v[94:95] offset:37488                    // 00000000B938: D89A9270 00005E19
	s_waitcnt lgkmcnt(0)                                       // 00000000B940: BF8CC07F
	s_barrier                                                  // 00000000B944: BF8A0000
	ds_read_b64 v[80:81], v24 offset:33792                     // 00000000B948: D8EC8400 50000018
	ds_read_b64 v[82:83], v24 offset:33920                     // 00000000B950: D8EC8480 52000018
	ds_read_b64 v[84:85], v24 offset:33824                     // 00000000B958: D8EC8420 54000018
	ds_read_b64 v[86:87], v24 offset:33952                     // 00000000B960: D8EC84A0 56000018
	ds_read_b64 v[88:89], v24 offset:33856                     // 00000000B968: D8EC8440 58000018
	ds_read_b64 v[90:91], v24 offset:33984                     // 00000000B970: D8EC84C0 5A000018
	ds_read_b64 v[92:93], v24 offset:33888                     // 00000000B978: D8EC8460 5C000018
	ds_read_b64 v[94:95], v24 offset:34016                     // 00000000B980: D8EC84E0 5E000018
	s_waitcnt lgkmcnt(0)                                       // 00000000B988: BF8CC07F
	s_mov_b32 s70, s52                                         // 00000000B98C: BEC60034
	s_mov_b64 exec, s[92:93]                                   // 00000000B990: BEFE015C
	buffer_store_dwordx4 v[80:83], v5, s[36:39], 0 idxen       // 00000000B994: E07C2000 80095005
	s_mov_b32 exec_lo, -1                                      // 00000000B99C: BEFE00C1
	s_mov_b32 exec_hi, -1                                      // 00000000B9A0: BEFF00C1
	v_add_u32_e32 v5, s70, v5                                  // 00000000B9A4: 680A0A46
	s_mov_b64 exec, s[92:93]                                   // 00000000B9A8: BEFE015C
	buffer_store_dwordx4 v[84:87], v5, s[36:39], 0 idxen       // 00000000B9AC: E07C2000 80095405
	s_mov_b32 exec_lo, -1                                      // 00000000B9B4: BEFE00C1
	s_mov_b32 exec_hi, -1                                      // 00000000B9B8: BEFF00C1
	v_add_u32_e32 v5, s70, v5                                  // 00000000B9BC: 680A0A46
	s_mov_b64 exec, s[92:93]                                   // 00000000B9C0: BEFE015C
	buffer_store_dwordx4 v[88:91], v5, s[36:39], 0 idxen       // 00000000B9C4: E07C2000 80095805
	s_mov_b32 exec_lo, -1                                      // 00000000B9CC: BEFE00C1
	s_mov_b32 exec_hi, -1                                      // 00000000B9D0: BEFF00C1
	v_add_u32_e32 v5, s70, v5                                  // 00000000B9D4: 680A0A46
	s_mov_b64 exec, s[92:93]                                   // 00000000B9D8: BEFE015C
	buffer_store_dwordx4 v[92:95], v5, s[36:39], 0 idxen       // 00000000B9DC: E07C2000 80095C05
	s_mov_b32 exec_lo, -1                                      // 00000000B9E4: BEFE00C1
	s_mov_b32 exec_hi, -1                                      // 00000000B9E8: BEFF00C1
	v_add_u32_e32 v5, s70, v5                                  // 00000000B9EC: 680A0A46
	s_mul_i32 s60, 12, s70                                     // 00000000B9F0: 923C468C
	v_add_u32_e32 v5, s60, v5                                  // 00000000B9F4: 680A0A3C
	s_barrier                                                  // 00000000B9F8: BF8A0000
	s_cmp_ge_i32 3, s72                                        // 00000000B9FC: BF034883
	s_cbranch_scc1 label_1F15                                  // 00000000BA00: BF850000

000000000000ba04 <label_1F15>:
	v_mov_b32_e32 v30, v152                                    // 00000000BA04: 7E3C0398
	v_mov_b32_e32 v31, v153                                    // 00000000BA08: 7E3E0399
	v_cmp_u_f32_e64 s[78:79], v30, v30                         // 00000000BA0C: D048004E 00023D1E
	v_bfe_u32 v248, v30, 16, 1                                 // 00000000BA14: D1C800F8 0205211E
	v_add3_u32 v248, v30, v248, v251                           // 00000000BA1C: D1FF00F8 07EFF11E
	v_cndmask_b32_e64 v28, v248, v250, s[78:79]                // 00000000BA24: D100001C 013BF5F8
	v_lshrrev_b32_e32 v28, 16, v28                             // 00000000BA2C: 20383890
	v_cmp_u_f32_e64 s[78:79], v31, v31                         // 00000000BA30: D048004E 00023F1F
	v_bfe_u32 v248, v31, 16, 1                                 // 00000000BA38: D1C800F8 0205211F
	v_add3_u32 v248, v31, v248, v251                           // 00000000BA40: D1FF00F8 07EFF11F
	v_cndmask_b32_e64 v29, v248, v250, s[78:79]                // 00000000BA48: D100001D 013BF5F8
	v_and_or_b32 v152, v29, v249, v28                          // 00000000BA50: D2010098 0473F31D
	v_mov_b32_e32 v30, v154                                    // 00000000BA58: 7E3C039A
	v_mov_b32_e32 v31, v155                                    // 00000000BA5C: 7E3E039B
	v_cmp_u_f32_e64 s[78:79], v30, v30                         // 00000000BA60: D048004E 00023D1E
	v_bfe_u32 v248, v30, 16, 1                                 // 00000000BA68: D1C800F8 0205211E
	v_add3_u32 v248, v30, v248, v251                           // 00000000BA70: D1FF00F8 07EFF11E
	v_cndmask_b32_e64 v28, v248, v250, s[78:79]                // 00000000BA78: D100001C 013BF5F8
	v_lshrrev_b32_e32 v28, 16, v28                             // 00000000BA80: 20383890
	v_cmp_u_f32_e64 s[78:79], v31, v31                         // 00000000BA84: D048004E 00023F1F
	v_bfe_u32 v248, v31, 16, 1                                 // 00000000BA8C: D1C800F8 0205211F
	v_add3_u32 v248, v31, v248, v251                           // 00000000BA94: D1FF00F8 07EFF11F
	v_cndmask_b32_e64 v29, v248, v250, s[78:79]                // 00000000BA9C: D100001D 013BF5F8
	v_and_or_b32 v153, v29, v249, v28                          // 00000000BAA4: D2010099 0473F31D
	v_mov_b32_e32 v30, v156                                    // 00000000BAAC: 7E3C039C
	v_mov_b32_e32 v31, v157                                    // 00000000BAB0: 7E3E039D
	v_cmp_u_f32_e64 s[78:79], v30, v30                         // 00000000BAB4: D048004E 00023D1E
	v_bfe_u32 v248, v30, 16, 1                                 // 00000000BABC: D1C800F8 0205211E
	v_add3_u32 v248, v30, v248, v251                           // 00000000BAC4: D1FF00F8 07EFF11E
	v_cndmask_b32_e64 v28, v248, v250, s[78:79]                // 00000000BACC: D100001C 013BF5F8
	v_lshrrev_b32_e32 v28, 16, v28                             // 00000000BAD4: 20383890
	v_cmp_u_f32_e64 s[78:79], v31, v31                         // 00000000BAD8: D048004E 00023F1F
	v_bfe_u32 v248, v31, 16, 1                                 // 00000000BAE0: D1C800F8 0205211F
	v_add3_u32 v248, v31, v248, v251                           // 00000000BAE8: D1FF00F8 07EFF11F
	v_cndmask_b32_e64 v29, v248, v250, s[78:79]                // 00000000BAF0: D100001D 013BF5F8
	v_and_or_b32 v154, v29, v249, v28                          // 00000000BAF8: D201009A 0473F31D
	v_mov_b32_e32 v30, v158                                    // 00000000BB00: 7E3C039E
	v_mov_b32_e32 v31, v159                                    // 00000000BB04: 7E3E039F
	v_cmp_u_f32_e64 s[78:79], v30, v30                         // 00000000BB08: D048004E 00023D1E
	v_bfe_u32 v248, v30, 16, 1                                 // 00000000BB10: D1C800F8 0205211E
	v_add3_u32 v248, v30, v248, v251                           // 00000000BB18: D1FF00F8 07EFF11E
	v_cndmask_b32_e64 v28, v248, v250, s[78:79]                // 00000000BB20: D100001C 013BF5F8
	v_lshrrev_b32_e32 v28, 16, v28                             // 00000000BB28: 20383890
	v_cmp_u_f32_e64 s[78:79], v31, v31                         // 00000000BB2C: D048004E 00023F1F
	v_bfe_u32 v248, v31, 16, 1                                 // 00000000BB34: D1C800F8 0205211F
	v_add3_u32 v248, v31, v248, v251                           // 00000000BB3C: D1FF00F8 07EFF11F
	v_cndmask_b32_e64 v29, v248, v250, s[78:79]                // 00000000BB44: D100001D 013BF5F8
	v_and_or_b32 v155, v29, v249, v28                          // 00000000BB4C: D201009B 0473F31D
	v_mov_b32_e32 v30, v160                                    // 00000000BB54: 7E3C03A0
	v_mov_b32_e32 v31, v161                                    // 00000000BB58: 7E3E03A1
	v_cmp_u_f32_e64 s[78:79], v30, v30                         // 00000000BB5C: D048004E 00023D1E
	v_bfe_u32 v248, v30, 16, 1                                 // 00000000BB64: D1C800F8 0205211E
	v_add3_u32 v248, v30, v248, v251                           // 00000000BB6C: D1FF00F8 07EFF11E
	v_cndmask_b32_e64 v28, v248, v250, s[78:79]                // 00000000BB74: D100001C 013BF5F8
	v_lshrrev_b32_e32 v28, 16, v28                             // 00000000BB7C: 20383890
	v_cmp_u_f32_e64 s[78:79], v31, v31                         // 00000000BB80: D048004E 00023F1F
	v_bfe_u32 v248, v31, 16, 1                                 // 00000000BB88: D1C800F8 0205211F
	v_add3_u32 v248, v31, v248, v251                           // 00000000BB90: D1FF00F8 07EFF11F
	v_cndmask_b32_e64 v29, v248, v250, s[78:79]                // 00000000BB98: D100001D 013BF5F8
	v_and_or_b32 v156, v29, v249, v28                          // 00000000BBA0: D201009C 0473F31D
	v_mov_b32_e32 v30, v162                                    // 00000000BBA8: 7E3C03A2
	v_mov_b32_e32 v31, v163                                    // 00000000BBAC: 7E3E03A3
	v_cmp_u_f32_e64 s[78:79], v30, v30                         // 00000000BBB0: D048004E 00023D1E
	v_bfe_u32 v248, v30, 16, 1                                 // 00000000BBB8: D1C800F8 0205211E
	v_add3_u32 v248, v30, v248, v251                           // 00000000BBC0: D1FF00F8 07EFF11E
	v_cndmask_b32_e64 v28, v248, v250, s[78:79]                // 00000000BBC8: D100001C 013BF5F8
	v_lshrrev_b32_e32 v28, 16, v28                             // 00000000BBD0: 20383890
	v_cmp_u_f32_e64 s[78:79], v31, v31                         // 00000000BBD4: D048004E 00023F1F
	v_bfe_u32 v248, v31, 16, 1                                 // 00000000BBDC: D1C800F8 0205211F
	v_add3_u32 v248, v31, v248, v251                           // 00000000BBE4: D1FF00F8 07EFF11F
	v_cndmask_b32_e64 v29, v248, v250, s[78:79]                // 00000000BBEC: D100001D 013BF5F8
	v_and_or_b32 v157, v29, v249, v28                          // 00000000BBF4: D201009D 0473F31D
	v_mov_b32_e32 v30, v164                                    // 00000000BBFC: 7E3C03A4
	v_mov_b32_e32 v31, v165                                    // 00000000BC00: 7E3E03A5
	v_cmp_u_f32_e64 s[78:79], v30, v30                         // 00000000BC04: D048004E 00023D1E
	v_bfe_u32 v248, v30, 16, 1                                 // 00000000BC0C: D1C800F8 0205211E
	v_add3_u32 v248, v30, v248, v251                           // 00000000BC14: D1FF00F8 07EFF11E
	v_cndmask_b32_e64 v28, v248, v250, s[78:79]                // 00000000BC1C: D100001C 013BF5F8
	v_lshrrev_b32_e32 v28, 16, v28                             // 00000000BC24: 20383890
	v_cmp_u_f32_e64 s[78:79], v31, v31                         // 00000000BC28: D048004E 00023F1F
	v_bfe_u32 v248, v31, 16, 1                                 // 00000000BC30: D1C800F8 0205211F
	v_add3_u32 v248, v31, v248, v251                           // 00000000BC38: D1FF00F8 07EFF11F
	v_cndmask_b32_e64 v29, v248, v250, s[78:79]                // 00000000BC40: D100001D 013BF5F8
	v_and_or_b32 v158, v29, v249, v28                          // 00000000BC48: D201009E 0473F31D
	v_mov_b32_e32 v30, v166                                    // 00000000BC50: 7E3C03A6
	v_mov_b32_e32 v31, v167                                    // 00000000BC54: 7E3E03A7
	v_cmp_u_f32_e64 s[78:79], v30, v30                         // 00000000BC58: D048004E 00023D1E
	v_bfe_u32 v248, v30, 16, 1                                 // 00000000BC60: D1C800F8 0205211E
	v_add3_u32 v248, v30, v248, v251                           // 00000000BC68: D1FF00F8 07EFF11E
	v_cndmask_b32_e64 v28, v248, v250, s[78:79]                // 00000000BC70: D100001C 013BF5F8
	v_lshrrev_b32_e32 v28, 16, v28                             // 00000000BC78: 20383890
	v_cmp_u_f32_e64 s[78:79], v31, v31                         // 00000000BC7C: D048004E 00023F1F
	v_bfe_u32 v248, v31, 16, 1                                 // 00000000BC84: D1C800F8 0205211F
	v_add3_u32 v248, v31, v248, v251                           // 00000000BC8C: D1FF00F8 07EFF11F
	v_cndmask_b32_e64 v29, v248, v250, s[78:79]                // 00000000BC94: D100001D 013BF5F8
	v_and_or_b32 v159, v29, v249, v28                          // 00000000BC9C: D201009F 0473F31D
	v_mov_b32_e32 v30, v168                                    // 00000000BCA4: 7E3C03A8
	v_mov_b32_e32 v31, v169                                    // 00000000BCA8: 7E3E03A9
	v_cmp_u_f32_e64 s[78:79], v30, v30                         // 00000000BCAC: D048004E 00023D1E
	v_bfe_u32 v248, v30, 16, 1                                 // 00000000BCB4: D1C800F8 0205211E
	v_add3_u32 v248, v30, v248, v251                           // 00000000BCBC: D1FF00F8 07EFF11E
	v_cndmask_b32_e64 v28, v248, v250, s[78:79]                // 00000000BCC4: D100001C 013BF5F8
	v_lshrrev_b32_e32 v28, 16, v28                             // 00000000BCCC: 20383890
	v_cmp_u_f32_e64 s[78:79], v31, v31                         // 00000000BCD0: D048004E 00023F1F
	v_bfe_u32 v248, v31, 16, 1                                 // 00000000BCD8: D1C800F8 0205211F
	v_add3_u32 v248, v31, v248, v251                           // 00000000BCE0: D1FF00F8 07EFF11F
	v_cndmask_b32_e64 v29, v248, v250, s[78:79]                // 00000000BCE8: D100001D 013BF5F8
	v_and_or_b32 v160, v29, v249, v28                          // 00000000BCF0: D20100A0 0473F31D
	v_mov_b32_e32 v30, v170                                    // 00000000BCF8: 7E3C03AA
	v_mov_b32_e32 v31, v171                                    // 00000000BCFC: 7E3E03AB
	v_cmp_u_f32_e64 s[78:79], v30, v30                         // 00000000BD00: D048004E 00023D1E
	v_bfe_u32 v248, v30, 16, 1                                 // 00000000BD08: D1C800F8 0205211E
	v_add3_u32 v248, v30, v248, v251                           // 00000000BD10: D1FF00F8 07EFF11E
	v_cndmask_b32_e64 v28, v248, v250, s[78:79]                // 00000000BD18: D100001C 013BF5F8
	v_lshrrev_b32_e32 v28, 16, v28                             // 00000000BD20: 20383890
	v_cmp_u_f32_e64 s[78:79], v31, v31                         // 00000000BD24: D048004E 00023F1F
	v_bfe_u32 v248, v31, 16, 1                                 // 00000000BD2C: D1C800F8 0205211F
	v_add3_u32 v248, v31, v248, v251                           // 00000000BD34: D1FF00F8 07EFF11F
	v_cndmask_b32_e64 v29, v248, v250, s[78:79]                // 00000000BD3C: D100001D 013BF5F8
	v_and_or_b32 v161, v29, v249, v28                          // 00000000BD44: D20100A1 0473F31D
	v_mov_b32_e32 v30, v172                                    // 00000000BD4C: 7E3C03AC
	v_mov_b32_e32 v31, v173                                    // 00000000BD50: 7E3E03AD
	v_cmp_u_f32_e64 s[78:79], v30, v30                         // 00000000BD54: D048004E 00023D1E
	v_bfe_u32 v248, v30, 16, 1                                 // 00000000BD5C: D1C800F8 0205211E
	v_add3_u32 v248, v30, v248, v251                           // 00000000BD64: D1FF00F8 07EFF11E
	v_cndmask_b32_e64 v28, v248, v250, s[78:79]                // 00000000BD6C: D100001C 013BF5F8
	v_lshrrev_b32_e32 v28, 16, v28                             // 00000000BD74: 20383890
	v_cmp_u_f32_e64 s[78:79], v31, v31                         // 00000000BD78: D048004E 00023F1F
	v_bfe_u32 v248, v31, 16, 1                                 // 00000000BD80: D1C800F8 0205211F
	v_add3_u32 v248, v31, v248, v251                           // 00000000BD88: D1FF00F8 07EFF11F
	v_cndmask_b32_e64 v29, v248, v250, s[78:79]                // 00000000BD90: D100001D 013BF5F8
	v_and_or_b32 v162, v29, v249, v28                          // 00000000BD98: D20100A2 0473F31D
	v_mov_b32_e32 v30, v174                                    // 00000000BDA0: 7E3C03AE
	v_mov_b32_e32 v31, v175                                    // 00000000BDA4: 7E3E03AF
	v_cmp_u_f32_e64 s[78:79], v30, v30                         // 00000000BDA8: D048004E 00023D1E
	v_bfe_u32 v248, v30, 16, 1                                 // 00000000BDB0: D1C800F8 0205211E
	v_add3_u32 v248, v30, v248, v251                           // 00000000BDB8: D1FF00F8 07EFF11E
	v_cndmask_b32_e64 v28, v248, v250, s[78:79]                // 00000000BDC0: D100001C 013BF5F8
	v_lshrrev_b32_e32 v28, 16, v28                             // 00000000BDC8: 20383890
	v_cmp_u_f32_e64 s[78:79], v31, v31                         // 00000000BDCC: D048004E 00023F1F
	v_bfe_u32 v248, v31, 16, 1                                 // 00000000BDD4: D1C800F8 0205211F
	v_add3_u32 v248, v31, v248, v251                           // 00000000BDDC: D1FF00F8 07EFF11F
	v_cndmask_b32_e64 v29, v248, v250, s[78:79]                // 00000000BDE4: D100001D 013BF5F8
	v_and_or_b32 v163, v29, v249, v28                          // 00000000BDEC: D20100A3 0473F31D
	v_mov_b32_e32 v30, v176                                    // 00000000BDF4: 7E3C03B0
	v_mov_b32_e32 v31, v177                                    // 00000000BDF8: 7E3E03B1
	v_cmp_u_f32_e64 s[78:79], v30, v30                         // 00000000BDFC: D048004E 00023D1E
	v_bfe_u32 v248, v30, 16, 1                                 // 00000000BE04: D1C800F8 0205211E
	v_add3_u32 v248, v30, v248, v251                           // 00000000BE0C: D1FF00F8 07EFF11E
	v_cndmask_b32_e64 v28, v248, v250, s[78:79]                // 00000000BE14: D100001C 013BF5F8
	v_lshrrev_b32_e32 v28, 16, v28                             // 00000000BE1C: 20383890
	v_cmp_u_f32_e64 s[78:79], v31, v31                         // 00000000BE20: D048004E 00023F1F
	v_bfe_u32 v248, v31, 16, 1                                 // 00000000BE28: D1C800F8 0205211F
	v_add3_u32 v248, v31, v248, v251                           // 00000000BE30: D1FF00F8 07EFF11F
	v_cndmask_b32_e64 v29, v248, v250, s[78:79]                // 00000000BE38: D100001D 013BF5F8
	v_and_or_b32 v164, v29, v249, v28                          // 00000000BE40: D20100A4 0473F31D
	v_mov_b32_e32 v30, v178                                    // 00000000BE48: 7E3C03B2
	v_mov_b32_e32 v31, v179                                    // 00000000BE4C: 7E3E03B3
	v_cmp_u_f32_e64 s[78:79], v30, v30                         // 00000000BE50: D048004E 00023D1E
	v_bfe_u32 v248, v30, 16, 1                                 // 00000000BE58: D1C800F8 0205211E
	v_add3_u32 v248, v30, v248, v251                           // 00000000BE60: D1FF00F8 07EFF11E
	v_cndmask_b32_e64 v28, v248, v250, s[78:79]                // 00000000BE68: D100001C 013BF5F8
	v_lshrrev_b32_e32 v28, 16, v28                             // 00000000BE70: 20383890
	v_cmp_u_f32_e64 s[78:79], v31, v31                         // 00000000BE74: D048004E 00023F1F
	v_bfe_u32 v248, v31, 16, 1                                 // 00000000BE7C: D1C800F8 0205211F
	v_add3_u32 v248, v31, v248, v251                           // 00000000BE84: D1FF00F8 07EFF11F
	v_cndmask_b32_e64 v29, v248, v250, s[78:79]                // 00000000BE8C: D100001D 013BF5F8
	v_and_or_b32 v165, v29, v249, v28                          // 00000000BE94: D20100A5 0473F31D
	v_mov_b32_e32 v30, v180                                    // 00000000BE9C: 7E3C03B4
	v_mov_b32_e32 v31, v181                                    // 00000000BEA0: 7E3E03B5
	v_cmp_u_f32_e64 s[78:79], v30, v30                         // 00000000BEA4: D048004E 00023D1E
	v_bfe_u32 v248, v30, 16, 1                                 // 00000000BEAC: D1C800F8 0205211E
	v_add3_u32 v248, v30, v248, v251                           // 00000000BEB4: D1FF00F8 07EFF11E
	v_cndmask_b32_e64 v28, v248, v250, s[78:79]                // 00000000BEBC: D100001C 013BF5F8
	v_lshrrev_b32_e32 v28, 16, v28                             // 00000000BEC4: 20383890
	v_cmp_u_f32_e64 s[78:79], v31, v31                         // 00000000BEC8: D048004E 00023F1F
	v_bfe_u32 v248, v31, 16, 1                                 // 00000000BED0: D1C800F8 0205211F
	v_add3_u32 v248, v31, v248, v251                           // 00000000BED8: D1FF00F8 07EFF11F
	v_cndmask_b32_e64 v29, v248, v250, s[78:79]                // 00000000BEE0: D100001D 013BF5F8
	v_and_or_b32 v166, v29, v249, v28                          // 00000000BEE8: D20100A6 0473F31D
	v_mov_b32_e32 v30, v182                                    // 00000000BEF0: 7E3C03B6
	v_mov_b32_e32 v31, v183                                    // 00000000BEF4: 7E3E03B7
	v_cmp_u_f32_e64 s[78:79], v30, v30                         // 00000000BEF8: D048004E 00023D1E
	v_bfe_u32 v248, v30, 16, 1                                 // 00000000BF00: D1C800F8 0205211E
	v_add3_u32 v248, v30, v248, v251                           // 00000000BF08: D1FF00F8 07EFF11E
	v_cndmask_b32_e64 v28, v248, v250, s[78:79]                // 00000000BF10: D100001C 013BF5F8
	v_lshrrev_b32_e32 v28, 16, v28                             // 00000000BF18: 20383890
	v_cmp_u_f32_e64 s[78:79], v31, v31                         // 00000000BF1C: D048004E 00023F1F
	v_bfe_u32 v248, v31, 16, 1                                 // 00000000BF24: D1C800F8 0205211F
	v_add3_u32 v248, v31, v248, v251                           // 00000000BF2C: D1FF00F8 07EFF11F
	v_cndmask_b32_e64 v29, v248, v250, s[78:79]                // 00000000BF34: D100001D 013BF5F8
	v_and_or_b32 v167, v29, v249, v28                          // 00000000BF3C: D20100A7 0473F31D
	ds_write_b64 v25, v[152:153]                               // 00000000BF44: D89A0000 00009819
	ds_write_b64 v25, v[154:155] offset:528                    // 00000000BF4C: D89A0210 00009A19
	ds_write_b64 v25, v[156:157] offset:1056                   // 00000000BF54: D89A0420 00009C19
	ds_write_b64 v25, v[158:159] offset:1584                   // 00000000BF5C: D89A0630 00009E19
	ds_write_b64 v25, v[160:161] offset:2112                   // 00000000BF64: D89A0840 0000A019
	ds_write_b64 v25, v[162:163] offset:2640                   // 00000000BF6C: D89A0A50 0000A219
	ds_write_b64 v25, v[164:165] offset:3168                   // 00000000BF74: D89A0C60 0000A419
	ds_write_b64 v25, v[166:167] offset:3696                   // 00000000BF7C: D89A0E70 0000A619
	s_waitcnt lgkmcnt(0)                                       // 00000000BF84: BF8CC07F
	s_barrier                                                  // 00000000BF88: BF8A0000
	ds_read_b64 v[152:153], v24                                // 00000000BF8C: D8EC0000 98000018
	ds_read_b64 v[154:155], v24 offset:128                     // 00000000BF94: D8EC0080 9A000018
	ds_read_b64 v[156:157], v24 offset:32                      // 00000000BF9C: D8EC0020 9C000018
	ds_read_b64 v[158:159], v24 offset:160                     // 00000000BFA4: D8EC00A0 9E000018
	ds_read_b64 v[160:161], v24 offset:64                      // 00000000BFAC: D8EC0040 A0000018
	ds_read_b64 v[162:163], v24 offset:192                     // 00000000BFB4: D8EC00C0 A2000018
	ds_read_b64 v[164:165], v24 offset:96                      // 00000000BFBC: D8EC0060 A4000018
	ds_read_b64 v[166:167], v24 offset:224                     // 00000000BFC4: D8EC00E0 A6000018
	s_waitcnt lgkmcnt(0)                                       // 00000000BFCC: BF8CC07F
	s_mov_b32 s70, s53                                         // 00000000BFD0: BEC60035
	s_mov_b64 exec, s[92:93]                                   // 00000000BFD4: BEFE015C
	buffer_store_dwordx4 v[152:155], v6, s[40:43], 0 idxen     // 00000000BFD8: E07C2000 800A9806
	s_mov_b32 exec_lo, -1                                      // 00000000BFE0: BEFE00C1
	s_mov_b32 exec_hi, -1                                      // 00000000BFE4: BEFF00C1
	v_add_u32_e32 v6, s70, v6                                  // 00000000BFE8: 680C0C46
	s_mov_b64 exec, s[92:93]                                   // 00000000BFEC: BEFE015C
	buffer_store_dwordx4 v[156:159], v6, s[40:43], 0 idxen     // 00000000BFF0: E07C2000 800A9C06
	s_mov_b32 exec_lo, -1                                      // 00000000BFF8: BEFE00C1
	s_mov_b32 exec_hi, -1                                      // 00000000BFFC: BEFF00C1
	v_add_u32_e32 v6, s70, v6                                  // 00000000C000: 680C0C46
	s_mov_b64 exec, s[92:93]                                   // 00000000C004: BEFE015C
	buffer_store_dwordx4 v[160:163], v6, s[40:43], 0 idxen     // 00000000C008: E07C2000 800AA006
	s_mov_b32 exec_lo, -1                                      // 00000000C010: BEFE00C1
	s_mov_b32 exec_hi, -1                                      // 00000000C014: BEFF00C1
	v_add_u32_e32 v6, s70, v6                                  // 00000000C018: 680C0C46
	s_mov_b64 exec, s[92:93]                                   // 00000000C01C: BEFE015C
	buffer_store_dwordx4 v[164:167], v6, s[40:43], 0 idxen     // 00000000C020: E07C2000 800AA406
	s_mov_b32 exec_lo, -1                                      // 00000000C028: BEFE00C1
	s_mov_b32 exec_hi, -1                                      // 00000000C02C: BEFF00C1
	v_add_u32_e32 v6, s70, v6                                  // 00000000C030: 680C0C46
	s_mul_i32 s60, 12, s70                                     // 00000000C034: 923C468C
	v_add_u32_e32 v6, s60, v6                                  // 00000000C038: 680C0C3C
	s_cmp_ge_i32 1, s72                                        // 00000000C03C: BF034881
	s_cbranch_scc1 label_23C5                                  // 00000000C040: BF850320
	v_mov_b32_e32 v30, v184                                    // 00000000C044: 7E3C03B8
	v_mov_b32_e32 v31, v185                                    // 00000000C048: 7E3E03B9
	v_cmp_u_f32_e64 s[78:79], v30, v30                         // 00000000C04C: D048004E 00023D1E
	v_bfe_u32 v248, v30, 16, 1                                 // 00000000C054: D1C800F8 0205211E
	v_add3_u32 v248, v30, v248, v251                           // 00000000C05C: D1FF00F8 07EFF11E
	v_cndmask_b32_e64 v28, v248, v250, s[78:79]                // 00000000C064: D100001C 013BF5F8
	v_lshrrev_b32_e32 v28, 16, v28                             // 00000000C06C: 20383890
	v_cmp_u_f32_e64 s[78:79], v31, v31                         // 00000000C070: D048004E 00023F1F
	v_bfe_u32 v248, v31, 16, 1                                 // 00000000C078: D1C800F8 0205211F
	v_add3_u32 v248, v31, v248, v251                           // 00000000C080: D1FF00F8 07EFF11F
	v_cndmask_b32_e64 v29, v248, v250, s[78:79]                // 00000000C088: D100001D 013BF5F8
	v_and_or_b32 v168, v29, v249, v28                          // 00000000C090: D20100A8 0473F31D
	v_mov_b32_e32 v30, v186                                    // 00000000C098: 7E3C03BA
	v_mov_b32_e32 v31, v187                                    // 00000000C09C: 7E3E03BB
	v_cmp_u_f32_e64 s[78:79], v30, v30                         // 00000000C0A0: D048004E 00023D1E
	v_bfe_u32 v248, v30, 16, 1                                 // 00000000C0A8: D1C800F8 0205211E
	v_add3_u32 v248, v30, v248, v251                           // 00000000C0B0: D1FF00F8 07EFF11E
	v_cndmask_b32_e64 v28, v248, v250, s[78:79]                // 00000000C0B8: D100001C 013BF5F8
	v_lshrrev_b32_e32 v28, 16, v28                             // 00000000C0C0: 20383890
	v_cmp_u_f32_e64 s[78:79], v31, v31                         // 00000000C0C4: D048004E 00023F1F
	v_bfe_u32 v248, v31, 16, 1                                 // 00000000C0CC: D1C800F8 0205211F
	v_add3_u32 v248, v31, v248, v251                           // 00000000C0D4: D1FF00F8 07EFF11F
	v_cndmask_b32_e64 v29, v248, v250, s[78:79]                // 00000000C0DC: D100001D 013BF5F8
	v_and_or_b32 v169, v29, v249, v28                          // 00000000C0E4: D20100A9 0473F31D
	v_mov_b32_e32 v30, v188                                    // 00000000C0EC: 7E3C03BC
	v_mov_b32_e32 v31, v189                                    // 00000000C0F0: 7E3E03BD
	v_cmp_u_f32_e64 s[78:79], v30, v30                         // 00000000C0F4: D048004E 00023D1E
	v_bfe_u32 v248, v30, 16, 1                                 // 00000000C0FC: D1C800F8 0205211E
	v_add3_u32 v248, v30, v248, v251                           // 00000000C104: D1FF00F8 07EFF11E
	v_cndmask_b32_e64 v28, v248, v250, s[78:79]                // 00000000C10C: D100001C 013BF5F8
	v_lshrrev_b32_e32 v28, 16, v28                             // 00000000C114: 20383890
	v_cmp_u_f32_e64 s[78:79], v31, v31                         // 00000000C118: D048004E 00023F1F
	v_bfe_u32 v248, v31, 16, 1                                 // 00000000C120: D1C800F8 0205211F
	v_add3_u32 v248, v31, v248, v251                           // 00000000C128: D1FF00F8 07EFF11F
	v_cndmask_b32_e64 v29, v248, v250, s[78:79]                // 00000000C130: D100001D 013BF5F8
	v_and_or_b32 v170, v29, v249, v28                          // 00000000C138: D20100AA 0473F31D
	v_mov_b32_e32 v30, v190                                    // 00000000C140: 7E3C03BE
	v_mov_b32_e32 v31, v191                                    // 00000000C144: 7E3E03BF
	v_cmp_u_f32_e64 s[78:79], v30, v30                         // 00000000C148: D048004E 00023D1E
	v_bfe_u32 v248, v30, 16, 1                                 // 00000000C150: D1C800F8 0205211E
	v_add3_u32 v248, v30, v248, v251                           // 00000000C158: D1FF00F8 07EFF11E
	v_cndmask_b32_e64 v28, v248, v250, s[78:79]                // 00000000C160: D100001C 013BF5F8
	v_lshrrev_b32_e32 v28, 16, v28                             // 00000000C168: 20383890
	v_cmp_u_f32_e64 s[78:79], v31, v31                         // 00000000C16C: D048004E 00023F1F
	v_bfe_u32 v248, v31, 16, 1                                 // 00000000C174: D1C800F8 0205211F
	v_add3_u32 v248, v31, v248, v251                           // 00000000C17C: D1FF00F8 07EFF11F
	v_cndmask_b32_e64 v29, v248, v250, s[78:79]                // 00000000C184: D100001D 013BF5F8
	v_and_or_b32 v171, v29, v249, v28                          // 00000000C18C: D20100AB 0473F31D
	v_mov_b32_e32 v30, v192                                    // 00000000C194: 7E3C03C0
	v_mov_b32_e32 v31, v193                                    // 00000000C198: 7E3E03C1
	v_cmp_u_f32_e64 s[78:79], v30, v30                         // 00000000C19C: D048004E 00023D1E
	v_bfe_u32 v248, v30, 16, 1                                 // 00000000C1A4: D1C800F8 0205211E
	v_add3_u32 v248, v30, v248, v251                           // 00000000C1AC: D1FF00F8 07EFF11E
	v_cndmask_b32_e64 v28, v248, v250, s[78:79]                // 00000000C1B4: D100001C 013BF5F8
	v_lshrrev_b32_e32 v28, 16, v28                             // 00000000C1BC: 20383890
	v_cmp_u_f32_e64 s[78:79], v31, v31                         // 00000000C1C0: D048004E 00023F1F
	v_bfe_u32 v248, v31, 16, 1                                 // 00000000C1C8: D1C800F8 0205211F
	v_add3_u32 v248, v31, v248, v251                           // 00000000C1D0: D1FF00F8 07EFF11F
	v_cndmask_b32_e64 v29, v248, v250, s[78:79]                // 00000000C1D8: D100001D 013BF5F8
	v_and_or_b32 v172, v29, v249, v28                          // 00000000C1E0: D20100AC 0473F31D
	v_mov_b32_e32 v30, v194                                    // 00000000C1E8: 7E3C03C2
	v_mov_b32_e32 v31, v195                                    // 00000000C1EC: 7E3E03C3
	v_cmp_u_f32_e64 s[78:79], v30, v30                         // 00000000C1F0: D048004E 00023D1E
	v_bfe_u32 v248, v30, 16, 1                                 // 00000000C1F8: D1C800F8 0205211E
	v_add3_u32 v248, v30, v248, v251                           // 00000000C200: D1FF00F8 07EFF11E
	v_cndmask_b32_e64 v28, v248, v250, s[78:79]                // 00000000C208: D100001C 013BF5F8
	v_lshrrev_b32_e32 v28, 16, v28                             // 00000000C210: 20383890
	v_cmp_u_f32_e64 s[78:79], v31, v31                         // 00000000C214: D048004E 00023F1F
	v_bfe_u32 v248, v31, 16, 1                                 // 00000000C21C: D1C800F8 0205211F
	v_add3_u32 v248, v31, v248, v251                           // 00000000C224: D1FF00F8 07EFF11F
	v_cndmask_b32_e64 v29, v248, v250, s[78:79]                // 00000000C22C: D100001D 013BF5F8
	v_and_or_b32 v173, v29, v249, v28                          // 00000000C234: D20100AD 0473F31D
	v_mov_b32_e32 v30, v196                                    // 00000000C23C: 7E3C03C4
	v_mov_b32_e32 v31, v197                                    // 00000000C240: 7E3E03C5
	v_cmp_u_f32_e64 s[78:79], v30, v30                         // 00000000C244: D048004E 00023D1E
	v_bfe_u32 v248, v30, 16, 1                                 // 00000000C24C: D1C800F8 0205211E
	v_add3_u32 v248, v30, v248, v251                           // 00000000C254: D1FF00F8 07EFF11E
	v_cndmask_b32_e64 v28, v248, v250, s[78:79]                // 00000000C25C: D100001C 013BF5F8
	v_lshrrev_b32_e32 v28, 16, v28                             // 00000000C264: 20383890
	v_cmp_u_f32_e64 s[78:79], v31, v31                         // 00000000C268: D048004E 00023F1F
	v_bfe_u32 v248, v31, 16, 1                                 // 00000000C270: D1C800F8 0205211F
	v_add3_u32 v248, v31, v248, v251                           // 00000000C278: D1FF00F8 07EFF11F
	v_cndmask_b32_e64 v29, v248, v250, s[78:79]                // 00000000C280: D100001D 013BF5F8
	v_and_or_b32 v174, v29, v249, v28                          // 00000000C288: D20100AE 0473F31D
	v_mov_b32_e32 v30, v198                                    // 00000000C290: 7E3C03C6
	v_mov_b32_e32 v31, v199                                    // 00000000C294: 7E3E03C7
	v_cmp_u_f32_e64 s[78:79], v30, v30                         // 00000000C298: D048004E 00023D1E
	v_bfe_u32 v248, v30, 16, 1                                 // 00000000C2A0: D1C800F8 0205211E
	v_add3_u32 v248, v30, v248, v251                           // 00000000C2A8: D1FF00F8 07EFF11E
	v_cndmask_b32_e64 v28, v248, v250, s[78:79]                // 00000000C2B0: D100001C 013BF5F8
	v_lshrrev_b32_e32 v28, 16, v28                             // 00000000C2B8: 20383890
	v_cmp_u_f32_e64 s[78:79], v31, v31                         // 00000000C2BC: D048004E 00023F1F
	v_bfe_u32 v248, v31, 16, 1                                 // 00000000C2C4: D1C800F8 0205211F
	v_add3_u32 v248, v31, v248, v251                           // 00000000C2CC: D1FF00F8 07EFF11F
	v_cndmask_b32_e64 v29, v248, v250, s[78:79]                // 00000000C2D4: D100001D 013BF5F8
	v_and_or_b32 v175, v29, v249, v28                          // 00000000C2DC: D20100AF 0473F31D
	v_mov_b32_e32 v30, v200                                    // 00000000C2E4: 7E3C03C8
	v_mov_b32_e32 v31, v201                                    // 00000000C2E8: 7E3E03C9
	v_cmp_u_f32_e64 s[78:79], v30, v30                         // 00000000C2EC: D048004E 00023D1E
	v_bfe_u32 v248, v30, 16, 1                                 // 00000000C2F4: D1C800F8 0205211E
	v_add3_u32 v248, v30, v248, v251                           // 00000000C2FC: D1FF00F8 07EFF11E
	v_cndmask_b32_e64 v28, v248, v250, s[78:79]                // 00000000C304: D100001C 013BF5F8
	v_lshrrev_b32_e32 v28, 16, v28                             // 00000000C30C: 20383890
	v_cmp_u_f32_e64 s[78:79], v31, v31                         // 00000000C310: D048004E 00023F1F
	v_bfe_u32 v248, v31, 16, 1                                 // 00000000C318: D1C800F8 0205211F
	v_add3_u32 v248, v31, v248, v251                           // 00000000C320: D1FF00F8 07EFF11F
	v_cndmask_b32_e64 v29, v248, v250, s[78:79]                // 00000000C328: D100001D 013BF5F8
	v_and_or_b32 v176, v29, v249, v28                          // 00000000C330: D20100B0 0473F31D
	v_mov_b32_e32 v30, v202                                    // 00000000C338: 7E3C03CA
	v_mov_b32_e32 v31, v203                                    // 00000000C33C: 7E3E03CB
	v_cmp_u_f32_e64 s[78:79], v30, v30                         // 00000000C340: D048004E 00023D1E
	v_bfe_u32 v248, v30, 16, 1                                 // 00000000C348: D1C800F8 0205211E
	v_add3_u32 v248, v30, v248, v251                           // 00000000C350: D1FF00F8 07EFF11E
	v_cndmask_b32_e64 v28, v248, v250, s[78:79]                // 00000000C358: D100001C 013BF5F8
	v_lshrrev_b32_e32 v28, 16, v28                             // 00000000C360: 20383890
	v_cmp_u_f32_e64 s[78:79], v31, v31                         // 00000000C364: D048004E 00023F1F
	v_bfe_u32 v248, v31, 16, 1                                 // 00000000C36C: D1C800F8 0205211F
	v_add3_u32 v248, v31, v248, v251                           // 00000000C374: D1FF00F8 07EFF11F
	v_cndmask_b32_e64 v29, v248, v250, s[78:79]                // 00000000C37C: D100001D 013BF5F8
	v_and_or_b32 v177, v29, v249, v28                          // 00000000C384: D20100B1 0473F31D
	v_mov_b32_e32 v30, v204                                    // 00000000C38C: 7E3C03CC
	v_mov_b32_e32 v31, v205                                    // 00000000C390: 7E3E03CD
	v_cmp_u_f32_e64 s[78:79], v30, v30                         // 00000000C394: D048004E 00023D1E
	v_bfe_u32 v248, v30, 16, 1                                 // 00000000C39C: D1C800F8 0205211E
	v_add3_u32 v248, v30, v248, v251                           // 00000000C3A4: D1FF00F8 07EFF11E
	v_cndmask_b32_e64 v28, v248, v250, s[78:79]                // 00000000C3AC: D100001C 013BF5F8
	v_lshrrev_b32_e32 v28, 16, v28                             // 00000000C3B4: 20383890
	v_cmp_u_f32_e64 s[78:79], v31, v31                         // 00000000C3B8: D048004E 00023F1F
	v_bfe_u32 v248, v31, 16, 1                                 // 00000000C3C0: D1C800F8 0205211F
	v_add3_u32 v248, v31, v248, v251                           // 00000000C3C8: D1FF00F8 07EFF11F
	v_cndmask_b32_e64 v29, v248, v250, s[78:79]                // 00000000C3D0: D100001D 013BF5F8
	v_and_or_b32 v178, v29, v249, v28                          // 00000000C3D8: D20100B2 0473F31D
	v_mov_b32_e32 v30, v206                                    // 00000000C3E0: 7E3C03CE
	v_mov_b32_e32 v31, v207                                    // 00000000C3E4: 7E3E03CF
	v_cmp_u_f32_e64 s[78:79], v30, v30                         // 00000000C3E8: D048004E 00023D1E
	v_bfe_u32 v248, v30, 16, 1                                 // 00000000C3F0: D1C800F8 0205211E
	v_add3_u32 v248, v30, v248, v251                           // 00000000C3F8: D1FF00F8 07EFF11E
	v_cndmask_b32_e64 v28, v248, v250, s[78:79]                // 00000000C400: D100001C 013BF5F8
	v_lshrrev_b32_e32 v28, 16, v28                             // 00000000C408: 20383890
	v_cmp_u_f32_e64 s[78:79], v31, v31                         // 00000000C40C: D048004E 00023F1F
	v_bfe_u32 v248, v31, 16, 1                                 // 00000000C414: D1C800F8 0205211F
	v_add3_u32 v248, v31, v248, v251                           // 00000000C41C: D1FF00F8 07EFF11F
	v_cndmask_b32_e64 v29, v248, v250, s[78:79]                // 00000000C424: D100001D 013BF5F8
	v_and_or_b32 v179, v29, v249, v28                          // 00000000C42C: D20100B3 0473F31D
	v_mov_b32_e32 v30, v208                                    // 00000000C434: 7E3C03D0
	v_mov_b32_e32 v31, v209                                    // 00000000C438: 7E3E03D1
	v_cmp_u_f32_e64 s[78:79], v30, v30                         // 00000000C43C: D048004E 00023D1E
	v_bfe_u32 v248, v30, 16, 1                                 // 00000000C444: D1C800F8 0205211E
	v_add3_u32 v248, v30, v248, v251                           // 00000000C44C: D1FF00F8 07EFF11E
	v_cndmask_b32_e64 v28, v248, v250, s[78:79]                // 00000000C454: D100001C 013BF5F8
	v_lshrrev_b32_e32 v28, 16, v28                             // 00000000C45C: 20383890
	v_cmp_u_f32_e64 s[78:79], v31, v31                         // 00000000C460: D048004E 00023F1F
	v_bfe_u32 v248, v31, 16, 1                                 // 00000000C468: D1C800F8 0205211F
	v_add3_u32 v248, v31, v248, v251                           // 00000000C470: D1FF00F8 07EFF11F
	v_cndmask_b32_e64 v29, v248, v250, s[78:79]                // 00000000C478: D100001D 013BF5F8
	v_and_or_b32 v180, v29, v249, v28                          // 00000000C480: D20100B4 0473F31D
	v_mov_b32_e32 v30, v210                                    // 00000000C488: 7E3C03D2
	v_mov_b32_e32 v31, v211                                    // 00000000C48C: 7E3E03D3
	v_cmp_u_f32_e64 s[78:79], v30, v30                         // 00000000C490: D048004E 00023D1E
	v_bfe_u32 v248, v30, 16, 1                                 // 00000000C498: D1C800F8 0205211E
	v_add3_u32 v248, v30, v248, v251                           // 00000000C4A0: D1FF00F8 07EFF11E
	v_cndmask_b32_e64 v28, v248, v250, s[78:79]                // 00000000C4A8: D100001C 013BF5F8
	v_lshrrev_b32_e32 v28, 16, v28                             // 00000000C4B0: 20383890
	v_cmp_u_f32_e64 s[78:79], v31, v31                         // 00000000C4B4: D048004E 00023F1F
	v_bfe_u32 v248, v31, 16, 1                                 // 00000000C4BC: D1C800F8 0205211F
	v_add3_u32 v248, v31, v248, v251                           // 00000000C4C4: D1FF00F8 07EFF11F
	v_cndmask_b32_e64 v29, v248, v250, s[78:79]                // 00000000C4CC: D100001D 013BF5F8
	v_and_or_b32 v181, v29, v249, v28                          // 00000000C4D4: D20100B5 0473F31D
	v_mov_b32_e32 v30, v212                                    // 00000000C4DC: 7E3C03D4
	v_mov_b32_e32 v31, v213                                    // 00000000C4E0: 7E3E03D5
	v_cmp_u_f32_e64 s[78:79], v30, v30                         // 00000000C4E4: D048004E 00023D1E
	v_bfe_u32 v248, v30, 16, 1                                 // 00000000C4EC: D1C800F8 0205211E
	v_add3_u32 v248, v30, v248, v251                           // 00000000C4F4: D1FF00F8 07EFF11E
	v_cndmask_b32_e64 v28, v248, v250, s[78:79]                // 00000000C4FC: D100001C 013BF5F8
	v_lshrrev_b32_e32 v28, 16, v28                             // 00000000C504: 20383890
	v_cmp_u_f32_e64 s[78:79], v31, v31                         // 00000000C508: D048004E 00023F1F
	v_bfe_u32 v248, v31, 16, 1                                 // 00000000C510: D1C800F8 0205211F
	v_add3_u32 v248, v31, v248, v251                           // 00000000C518: D1FF00F8 07EFF11F
	v_cndmask_b32_e64 v29, v248, v250, s[78:79]                // 00000000C520: D100001D 013BF5F8
	v_and_or_b32 v182, v29, v249, v28                          // 00000000C528: D20100B6 0473F31D
	v_mov_b32_e32 v30, v214                                    // 00000000C530: 7E3C03D6
	v_mov_b32_e32 v31, v215                                    // 00000000C534: 7E3E03D7
	v_cmp_u_f32_e64 s[78:79], v30, v30                         // 00000000C538: D048004E 00023D1E
	v_bfe_u32 v248, v30, 16, 1                                 // 00000000C540: D1C800F8 0205211E
	v_add3_u32 v248, v30, v248, v251                           // 00000000C548: D1FF00F8 07EFF11E
	v_cndmask_b32_e64 v28, v248, v250, s[78:79]                // 00000000C550: D100001C 013BF5F8
	v_lshrrev_b32_e32 v28, 16, v28                             // 00000000C558: 20383890
	v_cmp_u_f32_e64 s[78:79], v31, v31                         // 00000000C55C: D048004E 00023F1F
	v_bfe_u32 v248, v31, 16, 1                                 // 00000000C564: D1C800F8 0205211F
	v_add3_u32 v248, v31, v248, v251                           // 00000000C56C: D1FF00F8 07EFF11F
	v_cndmask_b32_e64 v29, v248, v250, s[78:79]                // 00000000C574: D100001D 013BF5F8
	v_and_or_b32 v183, v29, v249, v28                          // 00000000C57C: D20100B7 0473F31D
	ds_write_b64 v25, v[168:169] offset:16896                  // 00000000C584: D89A4200 0000A819
	ds_write_b64 v25, v[170:171] offset:17424                  // 00000000C58C: D89A4410 0000AA19
	ds_write_b64 v25, v[172:173] offset:17952                  // 00000000C594: D89A4620 0000AC19
	ds_write_b64 v25, v[174:175] offset:18480                  // 00000000C59C: D89A4830 0000AE19
	ds_write_b64 v25, v[176:177] offset:19008                  // 00000000C5A4: D89A4A40 0000B019
	ds_write_b64 v25, v[178:179] offset:19536                  // 00000000C5AC: D89A4C50 0000B219
	ds_write_b64 v25, v[180:181] offset:20064                  // 00000000C5B4: D89A4E60 0000B419
	ds_write_b64 v25, v[182:183] offset:20592                  // 00000000C5BC: D89A5070 0000B619
	s_waitcnt lgkmcnt(0)                                       // 00000000C5C4: BF8CC07F
	s_barrier                                                  // 00000000C5C8: BF8A0000
	ds_read_b64 v[168:169], v24 offset:16896                   // 00000000C5CC: D8EC4200 A8000018
	ds_read_b64 v[170:171], v24 offset:17024                   // 00000000C5D4: D8EC4280 AA000018
	ds_read_b64 v[172:173], v24 offset:16928                   // 00000000C5DC: D8EC4220 AC000018
	ds_read_b64 v[174:175], v24 offset:17056                   // 00000000C5E4: D8EC42A0 AE000018
	ds_read_b64 v[176:177], v24 offset:16960                   // 00000000C5EC: D8EC4240 B0000018
	ds_read_b64 v[178:179], v24 offset:17088                   // 00000000C5F4: D8EC42C0 B2000018
	ds_read_b64 v[180:181], v24 offset:16992                   // 00000000C5FC: D8EC4260 B4000018
	ds_read_b64 v[182:183], v24 offset:17120                   // 00000000C604: D8EC42E0 B6000018
	s_waitcnt lgkmcnt(0)                                       // 00000000C60C: BF8CC07F
	s_mov_b32 s70, s53                                         // 00000000C610: BEC60035
	s_mov_b64 exec, s[92:93]                                   // 00000000C614: BEFE015C
	buffer_store_dwordx4 v[168:171], v6, s[40:43], 0 idxen     // 00000000C618: E07C2000 800AA806
	s_mov_b32 exec_lo, -1                                      // 00000000C620: BEFE00C1
	s_mov_b32 exec_hi, -1                                      // 00000000C624: BEFF00C1
	v_add_u32_e32 v6, s70, v6                                  // 00000000C628: 680C0C46
	s_mov_b64 exec, s[92:93]                                   // 00000000C62C: BEFE015C
	buffer_store_dwordx4 v[172:175], v6, s[40:43], 0 idxen     // 00000000C630: E07C2000 800AAC06
	s_mov_b32 exec_lo, -1                                      // 00000000C638: BEFE00C1
	s_mov_b32 exec_hi, -1                                      // 00000000C63C: BEFF00C1
	v_add_u32_e32 v6, s70, v6                                  // 00000000C640: 680C0C46
	s_mov_b64 exec, s[92:93]                                   // 00000000C644: BEFE015C
	buffer_store_dwordx4 v[176:179], v6, s[40:43], 0 idxen     // 00000000C648: E07C2000 800AB006
	s_mov_b32 exec_lo, -1                                      // 00000000C650: BEFE00C1
	s_mov_b32 exec_hi, -1                                      // 00000000C654: BEFF00C1
	v_add_u32_e32 v6, s70, v6                                  // 00000000C658: 680C0C46
	s_mov_b64 exec, s[92:93]                                   // 00000000C65C: BEFE015C
	buffer_store_dwordx4 v[180:183], v6, s[40:43], 0 idxen     // 00000000C660: E07C2000 800AB406
	s_mov_b32 exec_lo, -1                                      // 00000000C668: BEFE00C1
	s_mov_b32 exec_hi, -1                                      // 00000000C66C: BEFF00C1
	v_add_u32_e32 v6, s70, v6                                  // 00000000C670: 680C0C46
	s_mul_i32 s60, 12, s70                                     // 00000000C674: 923C468C
	v_add_u32_e32 v6, s60, v6                                  // 00000000C678: 680C0C3C
	s_cmp_ge_i32 2, s72                                        // 00000000C67C: BF034882
	s_cbranch_scc1 label_23C5                                  // 00000000C680: BF850190
	v_mov_b32_e32 v30, v216                                    // 00000000C684: 7E3C03D8
	v_mov_b32_e32 v31, v217                                    // 00000000C688: 7E3E03D9
	v_cmp_u_f32_e64 s[78:79], v30, v30                         // 00000000C68C: D048004E 00023D1E
	v_bfe_u32 v248, v30, 16, 1                                 // 00000000C694: D1C800F8 0205211E
	v_add3_u32 v248, v30, v248, v251                           // 00000000C69C: D1FF00F8 07EFF11E
	v_cndmask_b32_e64 v28, v248, v250, s[78:79]                // 00000000C6A4: D100001C 013BF5F8
	v_lshrrev_b32_e32 v28, 16, v28                             // 00000000C6AC: 20383890
	v_cmp_u_f32_e64 s[78:79], v31, v31                         // 00000000C6B0: D048004E 00023F1F
	v_bfe_u32 v248, v31, 16, 1                                 // 00000000C6B8: D1C800F8 0205211F
	v_add3_u32 v248, v31, v248, v251                           // 00000000C6C0: D1FF00F8 07EFF11F
	v_cndmask_b32_e64 v29, v248, v250, s[78:79]                // 00000000C6C8: D100001D 013BF5F8
	v_and_or_b32 v184, v29, v249, v28                          // 00000000C6D0: D20100B8 0473F31D
	v_mov_b32_e32 v30, v218                                    // 00000000C6D8: 7E3C03DA
	v_mov_b32_e32 v31, v219                                    // 00000000C6DC: 7E3E03DB
	v_cmp_u_f32_e64 s[78:79], v30, v30                         // 00000000C6E0: D048004E 00023D1E
	v_bfe_u32 v248, v30, 16, 1                                 // 00000000C6E8: D1C800F8 0205211E
	v_add3_u32 v248, v30, v248, v251                           // 00000000C6F0: D1FF00F8 07EFF11E
	v_cndmask_b32_e64 v28, v248, v250, s[78:79]                // 00000000C6F8: D100001C 013BF5F8
	v_lshrrev_b32_e32 v28, 16, v28                             // 00000000C700: 20383890
	v_cmp_u_f32_e64 s[78:79], v31, v31                         // 00000000C704: D048004E 00023F1F
	v_bfe_u32 v248, v31, 16, 1                                 // 00000000C70C: D1C800F8 0205211F
	v_add3_u32 v248, v31, v248, v251                           // 00000000C714: D1FF00F8 07EFF11F
	v_cndmask_b32_e64 v29, v248, v250, s[78:79]                // 00000000C71C: D100001D 013BF5F8
	v_and_or_b32 v185, v29, v249, v28                          // 00000000C724: D20100B9 0473F31D
	v_mov_b32_e32 v30, v220                                    // 00000000C72C: 7E3C03DC
	v_mov_b32_e32 v31, v221                                    // 00000000C730: 7E3E03DD
	v_cmp_u_f32_e64 s[78:79], v30, v30                         // 00000000C734: D048004E 00023D1E
	v_bfe_u32 v248, v30, 16, 1                                 // 00000000C73C: D1C800F8 0205211E
	v_add3_u32 v248, v30, v248, v251                           // 00000000C744: D1FF00F8 07EFF11E
	v_cndmask_b32_e64 v28, v248, v250, s[78:79]                // 00000000C74C: D100001C 013BF5F8
	v_lshrrev_b32_e32 v28, 16, v28                             // 00000000C754: 20383890
	v_cmp_u_f32_e64 s[78:79], v31, v31                         // 00000000C758: D048004E 00023F1F
	v_bfe_u32 v248, v31, 16, 1                                 // 00000000C760: D1C800F8 0205211F
	v_add3_u32 v248, v31, v248, v251                           // 00000000C768: D1FF00F8 07EFF11F
	v_cndmask_b32_e64 v29, v248, v250, s[78:79]                // 00000000C770: D100001D 013BF5F8
	v_and_or_b32 v186, v29, v249, v28                          // 00000000C778: D20100BA 0473F31D
	v_mov_b32_e32 v30, v222                                    // 00000000C780: 7E3C03DE
	v_mov_b32_e32 v31, v223                                    // 00000000C784: 7E3E03DF
	v_cmp_u_f32_e64 s[78:79], v30, v30                         // 00000000C788: D048004E 00023D1E
	v_bfe_u32 v248, v30, 16, 1                                 // 00000000C790: D1C800F8 0205211E
	v_add3_u32 v248, v30, v248, v251                           // 00000000C798: D1FF00F8 07EFF11E
	v_cndmask_b32_e64 v28, v248, v250, s[78:79]                // 00000000C7A0: D100001C 013BF5F8
	v_lshrrev_b32_e32 v28, 16, v28                             // 00000000C7A8: 20383890
	v_cmp_u_f32_e64 s[78:79], v31, v31                         // 00000000C7AC: D048004E 00023F1F
	v_bfe_u32 v248, v31, 16, 1                                 // 00000000C7B4: D1C800F8 0205211F
	v_add3_u32 v248, v31, v248, v251                           // 00000000C7BC: D1FF00F8 07EFF11F
	v_cndmask_b32_e64 v29, v248, v250, s[78:79]                // 00000000C7C4: D100001D 013BF5F8
	v_and_or_b32 v187, v29, v249, v28                          // 00000000C7CC: D20100BB 0473F31D
	v_mov_b32_e32 v30, v224                                    // 00000000C7D4: 7E3C03E0
	v_mov_b32_e32 v31, v225                                    // 00000000C7D8: 7E3E03E1
	v_cmp_u_f32_e64 s[78:79], v30, v30                         // 00000000C7DC: D048004E 00023D1E
	v_bfe_u32 v248, v30, 16, 1                                 // 00000000C7E4: D1C800F8 0205211E
	v_add3_u32 v248, v30, v248, v251                           // 00000000C7EC: D1FF00F8 07EFF11E
	v_cndmask_b32_e64 v28, v248, v250, s[78:79]                // 00000000C7F4: D100001C 013BF5F8
	v_lshrrev_b32_e32 v28, 16, v28                             // 00000000C7FC: 20383890
	v_cmp_u_f32_e64 s[78:79], v31, v31                         // 00000000C800: D048004E 00023F1F
	v_bfe_u32 v248, v31, 16, 1                                 // 00000000C808: D1C800F8 0205211F
	v_add3_u32 v248, v31, v248, v251                           // 00000000C810: D1FF00F8 07EFF11F
	v_cndmask_b32_e64 v29, v248, v250, s[78:79]                // 00000000C818: D100001D 013BF5F8
	v_and_or_b32 v188, v29, v249, v28                          // 00000000C820: D20100BC 0473F31D
	v_mov_b32_e32 v30, v226                                    // 00000000C828: 7E3C03E2
	v_mov_b32_e32 v31, v227                                    // 00000000C82C: 7E3E03E3
	v_cmp_u_f32_e64 s[78:79], v30, v30                         // 00000000C830: D048004E 00023D1E
	v_bfe_u32 v248, v30, 16, 1                                 // 00000000C838: D1C800F8 0205211E
	v_add3_u32 v248, v30, v248, v251                           // 00000000C840: D1FF00F8 07EFF11E
	v_cndmask_b32_e64 v28, v248, v250, s[78:79]                // 00000000C848: D100001C 013BF5F8
	v_lshrrev_b32_e32 v28, 16, v28                             // 00000000C850: 20383890
	v_cmp_u_f32_e64 s[78:79], v31, v31                         // 00000000C854: D048004E 00023F1F
	v_bfe_u32 v248, v31, 16, 1                                 // 00000000C85C: D1C800F8 0205211F
	v_add3_u32 v248, v31, v248, v251                           // 00000000C864: D1FF00F8 07EFF11F
	v_cndmask_b32_e64 v29, v248, v250, s[78:79]                // 00000000C86C: D100001D 013BF5F8
	v_and_or_b32 v189, v29, v249, v28                          // 00000000C874: D20100BD 0473F31D
	v_mov_b32_e32 v30, v228                                    // 00000000C87C: 7E3C03E4
	v_mov_b32_e32 v31, v229                                    // 00000000C880: 7E3E03E5
	v_cmp_u_f32_e64 s[78:79], v30, v30                         // 00000000C884: D048004E 00023D1E
	v_bfe_u32 v248, v30, 16, 1                                 // 00000000C88C: D1C800F8 0205211E
	v_add3_u32 v248, v30, v248, v251                           // 00000000C894: D1FF00F8 07EFF11E
	v_cndmask_b32_e64 v28, v248, v250, s[78:79]                // 00000000C89C: D100001C 013BF5F8
	v_lshrrev_b32_e32 v28, 16, v28                             // 00000000C8A4: 20383890
	v_cmp_u_f32_e64 s[78:79], v31, v31                         // 00000000C8A8: D048004E 00023F1F
	v_bfe_u32 v248, v31, 16, 1                                 // 00000000C8B0: D1C800F8 0205211F
	v_add3_u32 v248, v31, v248, v251                           // 00000000C8B8: D1FF00F8 07EFF11F
	v_cndmask_b32_e64 v29, v248, v250, s[78:79]                // 00000000C8C0: D100001D 013BF5F8
	v_and_or_b32 v190, v29, v249, v28                          // 00000000C8C8: D20100BE 0473F31D
	v_mov_b32_e32 v30, v230                                    // 00000000C8D0: 7E3C03E6
	v_mov_b32_e32 v31, v231                                    // 00000000C8D4: 7E3E03E7
	v_cmp_u_f32_e64 s[78:79], v30, v30                         // 00000000C8D8: D048004E 00023D1E
	v_bfe_u32 v248, v30, 16, 1                                 // 00000000C8E0: D1C800F8 0205211E
	v_add3_u32 v248, v30, v248, v251                           // 00000000C8E8: D1FF00F8 07EFF11E
	v_cndmask_b32_e64 v28, v248, v250, s[78:79]                // 00000000C8F0: D100001C 013BF5F8
	v_lshrrev_b32_e32 v28, 16, v28                             // 00000000C8F8: 20383890
	v_cmp_u_f32_e64 s[78:79], v31, v31                         // 00000000C8FC: D048004E 00023F1F
	v_bfe_u32 v248, v31, 16, 1                                 // 00000000C904: D1C800F8 0205211F
	v_add3_u32 v248, v31, v248, v251                           // 00000000C90C: D1FF00F8 07EFF11F
	v_cndmask_b32_e64 v29, v248, v250, s[78:79]                // 00000000C914: D100001D 013BF5F8
	v_and_or_b32 v191, v29, v249, v28                          // 00000000C91C: D20100BF 0473F31D
	v_mov_b32_e32 v30, v232                                    // 00000000C924: 7E3C03E8
	v_mov_b32_e32 v31, v233                                    // 00000000C928: 7E3E03E9
	v_cmp_u_f32_e64 s[78:79], v30, v30                         // 00000000C92C: D048004E 00023D1E
	v_bfe_u32 v248, v30, 16, 1                                 // 00000000C934: D1C800F8 0205211E
	v_add3_u32 v248, v30, v248, v251                           // 00000000C93C: D1FF00F8 07EFF11E
	v_cndmask_b32_e64 v28, v248, v250, s[78:79]                // 00000000C944: D100001C 013BF5F8
	v_lshrrev_b32_e32 v28, 16, v28                             // 00000000C94C: 20383890
	v_cmp_u_f32_e64 s[78:79], v31, v31                         // 00000000C950: D048004E 00023F1F
	v_bfe_u32 v248, v31, 16, 1                                 // 00000000C958: D1C800F8 0205211F
	v_add3_u32 v248, v31, v248, v251                           // 00000000C960: D1FF00F8 07EFF11F
	v_cndmask_b32_e64 v29, v248, v250, s[78:79]                // 00000000C968: D100001D 013BF5F8
	v_and_or_b32 v192, v29, v249, v28                          // 00000000C970: D20100C0 0473F31D
	v_mov_b32_e32 v30, v234                                    // 00000000C978: 7E3C03EA
	v_mov_b32_e32 v31, v235                                    // 00000000C97C: 7E3E03EB
	v_cmp_u_f32_e64 s[78:79], v30, v30                         // 00000000C980: D048004E 00023D1E
	v_bfe_u32 v248, v30, 16, 1                                 // 00000000C988: D1C800F8 0205211E
	v_add3_u32 v248, v30, v248, v251                           // 00000000C990: D1FF00F8 07EFF11E
	v_cndmask_b32_e64 v28, v248, v250, s[78:79]                // 00000000C998: D100001C 013BF5F8
	v_lshrrev_b32_e32 v28, 16, v28                             // 00000000C9A0: 20383890
	v_cmp_u_f32_e64 s[78:79], v31, v31                         // 00000000C9A4: D048004E 00023F1F
	v_bfe_u32 v248, v31, 16, 1                                 // 00000000C9AC: D1C800F8 0205211F
	v_add3_u32 v248, v31, v248, v251                           // 00000000C9B4: D1FF00F8 07EFF11F
	v_cndmask_b32_e64 v29, v248, v250, s[78:79]                // 00000000C9BC: D100001D 013BF5F8
	v_and_or_b32 v193, v29, v249, v28                          // 00000000C9C4: D20100C1 0473F31D
	v_mov_b32_e32 v30, v236                                    // 00000000C9CC: 7E3C03EC
	v_mov_b32_e32 v31, v237                                    // 00000000C9D0: 7E3E03ED
	v_cmp_u_f32_e64 s[78:79], v30, v30                         // 00000000C9D4: D048004E 00023D1E
	v_bfe_u32 v248, v30, 16, 1                                 // 00000000C9DC: D1C800F8 0205211E
	v_add3_u32 v248, v30, v248, v251                           // 00000000C9E4: D1FF00F8 07EFF11E
	v_cndmask_b32_e64 v28, v248, v250, s[78:79]                // 00000000C9EC: D100001C 013BF5F8
	v_lshrrev_b32_e32 v28, 16, v28                             // 00000000C9F4: 20383890
	v_cmp_u_f32_e64 s[78:79], v31, v31                         // 00000000C9F8: D048004E 00023F1F
	v_bfe_u32 v248, v31, 16, 1                                 // 00000000CA00: D1C800F8 0205211F
	v_add3_u32 v248, v31, v248, v251                           // 00000000CA08: D1FF00F8 07EFF11F
	v_cndmask_b32_e64 v29, v248, v250, s[78:79]                // 00000000CA10: D100001D 013BF5F8
	v_and_or_b32 v194, v29, v249, v28                          // 00000000CA18: D20100C2 0473F31D
	v_mov_b32_e32 v30, v238                                    // 00000000CA20: 7E3C03EE
	v_mov_b32_e32 v31, v239                                    // 00000000CA24: 7E3E03EF
	v_cmp_u_f32_e64 s[78:79], v30, v30                         // 00000000CA28: D048004E 00023D1E
	v_bfe_u32 v248, v30, 16, 1                                 // 00000000CA30: D1C800F8 0205211E
	v_add3_u32 v248, v30, v248, v251                           // 00000000CA38: D1FF00F8 07EFF11E
	v_cndmask_b32_e64 v28, v248, v250, s[78:79]                // 00000000CA40: D100001C 013BF5F8
	v_lshrrev_b32_e32 v28, 16, v28                             // 00000000CA48: 20383890
	v_cmp_u_f32_e64 s[78:79], v31, v31                         // 00000000CA4C: D048004E 00023F1F
	v_bfe_u32 v248, v31, 16, 1                                 // 00000000CA54: D1C800F8 0205211F
	v_add3_u32 v248, v31, v248, v251                           // 00000000CA5C: D1FF00F8 07EFF11F
	v_cndmask_b32_e64 v29, v248, v250, s[78:79]                // 00000000CA64: D100001D 013BF5F8
	v_and_or_b32 v195, v29, v249, v28                          // 00000000CA6C: D20100C3 0473F31D
	v_mov_b32_e32 v30, v240                                    // 00000000CA74: 7E3C03F0
	v_mov_b32_e32 v31, v241                                    // 00000000CA78: 7E3E03F1
	v_cmp_u_f32_e64 s[78:79], v30, v30                         // 00000000CA7C: D048004E 00023D1E
	v_bfe_u32 v248, v30, 16, 1                                 // 00000000CA84: D1C800F8 0205211E
	v_add3_u32 v248, v30, v248, v251                           // 00000000CA8C: D1FF00F8 07EFF11E
	v_cndmask_b32_e64 v28, v248, v250, s[78:79]                // 00000000CA94: D100001C 013BF5F8
	v_lshrrev_b32_e32 v28, 16, v28                             // 00000000CA9C: 20383890
	v_cmp_u_f32_e64 s[78:79], v31, v31                         // 00000000CAA0: D048004E 00023F1F
	v_bfe_u32 v248, v31, 16, 1                                 // 00000000CAA8: D1C800F8 0205211F
	v_add3_u32 v248, v31, v248, v251                           // 00000000CAB0: D1FF00F8 07EFF11F
	v_cndmask_b32_e64 v29, v248, v250, s[78:79]                // 00000000CAB8: D100001D 013BF5F8
	v_and_or_b32 v196, v29, v249, v28                          // 00000000CAC0: D20100C4 0473F31D
	v_mov_b32_e32 v30, v242                                    // 00000000CAC8: 7E3C03F2
	v_mov_b32_e32 v31, v243                                    // 00000000CACC: 7E3E03F3
	v_cmp_u_f32_e64 s[78:79], v30, v30                         // 00000000CAD0: D048004E 00023D1E
	v_bfe_u32 v248, v30, 16, 1                                 // 00000000CAD8: D1C800F8 0205211E
	v_add3_u32 v248, v30, v248, v251                           // 00000000CAE0: D1FF00F8 07EFF11E
	v_cndmask_b32_e64 v28, v248, v250, s[78:79]                // 00000000CAE8: D100001C 013BF5F8
	v_lshrrev_b32_e32 v28, 16, v28                             // 00000000CAF0: 20383890
	v_cmp_u_f32_e64 s[78:79], v31, v31                         // 00000000CAF4: D048004E 00023F1F
	v_bfe_u32 v248, v31, 16, 1                                 // 00000000CAFC: D1C800F8 0205211F
	v_add3_u32 v248, v31, v248, v251                           // 00000000CB04: D1FF00F8 07EFF11F
	v_cndmask_b32_e64 v29, v248, v250, s[78:79]                // 00000000CB0C: D100001D 013BF5F8
	v_and_or_b32 v197, v29, v249, v28                          // 00000000CB14: D20100C5 0473F31D
	v_mov_b32_e32 v30, v244                                    // 00000000CB1C: 7E3C03F4
	v_mov_b32_e32 v31, v245                                    // 00000000CB20: 7E3E03F5
	v_cmp_u_f32_e64 s[78:79], v30, v30                         // 00000000CB24: D048004E 00023D1E
	v_bfe_u32 v248, v30, 16, 1                                 // 00000000CB2C: D1C800F8 0205211E
	v_add3_u32 v248, v30, v248, v251                           // 00000000CB34: D1FF00F8 07EFF11E
	v_cndmask_b32_e64 v28, v248, v250, s[78:79]                // 00000000CB3C: D100001C 013BF5F8
	v_lshrrev_b32_e32 v28, 16, v28                             // 00000000CB44: 20383890
	v_cmp_u_f32_e64 s[78:79], v31, v31                         // 00000000CB48: D048004E 00023F1F
	v_bfe_u32 v248, v31, 16, 1                                 // 00000000CB50: D1C800F8 0205211F
	v_add3_u32 v248, v31, v248, v251                           // 00000000CB58: D1FF00F8 07EFF11F
	v_cndmask_b32_e64 v29, v248, v250, s[78:79]                // 00000000CB60: D100001D 013BF5F8
	v_and_or_b32 v198, v29, v249, v28                          // 00000000CB68: D20100C6 0473F31D
	v_mov_b32_e32 v30, v246                                    // 00000000CB70: 7E3C03F6
	v_mov_b32_e32 v31, v247                                    // 00000000CB74: 7E3E03F7
	v_cmp_u_f32_e64 s[78:79], v30, v30                         // 00000000CB78: D048004E 00023D1E
	v_bfe_u32 v248, v30, 16, 1                                 // 00000000CB80: D1C800F8 0205211E
	v_add3_u32 v248, v30, v248, v251                           // 00000000CB88: D1FF00F8 07EFF11E
	v_cndmask_b32_e64 v28, v248, v250, s[78:79]                // 00000000CB90: D100001C 013BF5F8
	v_lshrrev_b32_e32 v28, 16, v28                             // 00000000CB98: 20383890
	v_cmp_u_f32_e64 s[78:79], v31, v31                         // 00000000CB9C: D048004E 00023F1F
	v_bfe_u32 v248, v31, 16, 1                                 // 00000000CBA4: D1C800F8 0205211F
	v_add3_u32 v248, v31, v248, v251                           // 00000000CBAC: D1FF00F8 07EFF11F
	v_cndmask_b32_e64 v29, v248, v250, s[78:79]                // 00000000CBB4: D100001D 013BF5F8
	v_and_or_b32 v199, v29, v249, v28                          // 00000000CBBC: D20100C7 0473F31D
	ds_write_b64 v25, v[184:185] offset:33792                  // 00000000CBC4: D89A8400 0000B819
	ds_write_b64 v25, v[186:187] offset:34320                  // 00000000CBCC: D89A8610 0000BA19
	ds_write_b64 v25, v[188:189] offset:34848                  // 00000000CBD4: D89A8820 0000BC19
	ds_write_b64 v25, v[190:191] offset:35376                  // 00000000CBDC: D89A8A30 0000BE19
	ds_write_b64 v25, v[192:193] offset:35904                  // 00000000CBE4: D89A8C40 0000C019
	ds_write_b64 v25, v[194:195] offset:36432                  // 00000000CBEC: D89A8E50 0000C219
	ds_write_b64 v25, v[196:197] offset:36960                  // 00000000CBF4: D89A9060 0000C419
	ds_write_b64 v25, v[198:199] offset:37488                  // 00000000CBFC: D89A9270 0000C619
	s_waitcnt lgkmcnt(0)                                       // 00000000CC04: BF8CC07F
	s_barrier                                                  // 00000000CC08: BF8A0000
	ds_read_b64 v[184:185], v24 offset:33792                   // 00000000CC0C: D8EC8400 B8000018
	ds_read_b64 v[186:187], v24 offset:33920                   // 00000000CC14: D8EC8480 BA000018
	ds_read_b64 v[188:189], v24 offset:33824                   // 00000000CC1C: D8EC8420 BC000018
	ds_read_b64 v[190:191], v24 offset:33952                   // 00000000CC24: D8EC84A0 BE000018
	ds_read_b64 v[192:193], v24 offset:33856                   // 00000000CC2C: D8EC8440 C0000018
	ds_read_b64 v[194:195], v24 offset:33984                   // 00000000CC34: D8EC84C0 C2000018
	ds_read_b64 v[196:197], v24 offset:33888                   // 00000000CC3C: D8EC8460 C4000018
	ds_read_b64 v[198:199], v24 offset:34016                   // 00000000CC44: D8EC84E0 C6000018
	s_waitcnt lgkmcnt(0)                                       // 00000000CC4C: BF8CC07F
	s_mov_b32 s70, s53                                         // 00000000CC50: BEC60035
	s_mov_b64 exec, s[92:93]                                   // 00000000CC54: BEFE015C
	buffer_store_dwordx4 v[184:187], v6, s[40:43], 0 idxen     // 00000000CC58: E07C2000 800AB806
	s_mov_b32 exec_lo, -1                                      // 00000000CC60: BEFE00C1
	s_mov_b32 exec_hi, -1                                      // 00000000CC64: BEFF00C1
	v_add_u32_e32 v6, s70, v6                                  // 00000000CC68: 680C0C46
	s_mov_b64 exec, s[92:93]                                   // 00000000CC6C: BEFE015C
	buffer_store_dwordx4 v[188:191], v6, s[40:43], 0 idxen     // 00000000CC70: E07C2000 800ABC06
	s_mov_b32 exec_lo, -1                                      // 00000000CC78: BEFE00C1
	s_mov_b32 exec_hi, -1                                      // 00000000CC7C: BEFF00C1
	v_add_u32_e32 v6, s70, v6                                  // 00000000CC80: 680C0C46
	s_mov_b64 exec, s[92:93]                                   // 00000000CC84: BEFE015C
	buffer_store_dwordx4 v[192:195], v6, s[40:43], 0 idxen     // 00000000CC88: E07C2000 800AC006
	s_mov_b32 exec_lo, -1                                      // 00000000CC90: BEFE00C1
	s_mov_b32 exec_hi, -1                                      // 00000000CC94: BEFF00C1
	v_add_u32_e32 v6, s70, v6                                  // 00000000CC98: 680C0C46
	s_mov_b64 exec, s[92:93]                                   // 00000000CC9C: BEFE015C
	buffer_store_dwordx4 v[196:199], v6, s[40:43], 0 idxen     // 00000000CCA0: E07C2000 800AC406
	s_mov_b32 exec_lo, -1                                      // 00000000CCA8: BEFE00C1
	s_mov_b32 exec_hi, -1                                      // 00000000CCAC: BEFF00C1
	v_add_u32_e32 v6, s70, v6                                  // 00000000CCB0: 680C0C46
	s_mul_i32 s60, 12, s70                                     // 00000000CCB4: 923C468C
	v_add_u32_e32 v6, s60, v6                                  // 00000000CCB8: 680C0C3C
	s_cmp_ge_i32 3, s72                                        // 00000000CCBC: BF034883
	s_cbranch_scc1 label_23C5                                  // 00000000CCC0: BF850000

000000000000ccc4 <label_23C5>:
	s_waitcnt vmcnt(0) expcnt(0) lgkmcnt(0)                    // 00000000CCC4: BF8C0000
	s_sub_i32 s60, s77, 1                                      // 00000000CCC8: 81BC814D
	s_sub_i32 s2, s60, s2                                      // 00000000CCCC: 8182023C
	s_addk_i32 s75, 0x1                                        // 00000000CCD0: B74B0001
	s_cmp_lt_i32 s75, s76                                      // 00000000CCD4: BF044C4B
	s_cbranch_scc1 label_0162                                  // 00000000CCD8: BF85DDAB
	s_endpgm                                                   // 00000000CCDC: BF810000
